;; amdgpu-corpus repo=ROCm/rocFFT kind=compiled arch=gfx906 opt=O3
	.text
	.amdgcn_target "amdgcn-amd-amdhsa--gfx906"
	.amdhsa_code_object_version 6
	.protected	bluestein_single_fwd_len1408_dim1_dp_op_CI_CI ; -- Begin function bluestein_single_fwd_len1408_dim1_dp_op_CI_CI
	.globl	bluestein_single_fwd_len1408_dim1_dp_op_CI_CI
	.p2align	8
	.type	bluestein_single_fwd_len1408_dim1_dp_op_CI_CI,@function
bluestein_single_fwd_len1408_dim1_dp_op_CI_CI: ; @bluestein_single_fwd_len1408_dim1_dp_op_CI_CI
; %bb.0:
	s_load_dwordx4 s[16:19], s[4:5], 0x28
	s_mov_b64 s[50:51], s[2:3]
	v_mul_u32_u24_e32 v1, 0x175, v0
	s_mov_b64 s[48:49], s[0:1]
	v_add_u32_sdwa v4, s6, v1 dst_sel:DWORD dst_unused:UNUSED_PAD src0_sel:DWORD src1_sel:WORD_1
	v_mov_b32_e32 v5, 0
	s_add_u32 s48, s48, s7
	s_waitcnt lgkmcnt(0)
	v_cmp_gt_u64_e32 vcc, s[16:17], v[4:5]
	s_addc_u32 s49, s49, 0
	s_and_saveexec_b64 s[0:1], vcc
	s_cbranch_execz .LBB0_10
; %bb.1:
	s_load_dwordx4 s[0:3], s[4:5], 0x18
	s_load_dwordx4 s[12:15], s[4:5], 0x0
	v_mov_b32_e32 v5, v4
	s_load_dwordx2 s[4:5], s[4:5], 0x38
                                        ; implicit-def: $vgpr112_vgpr113
	s_waitcnt lgkmcnt(0)
	s_load_dwordx4 s[8:11], s[0:1], 0x0
	s_movk_i32 s0, 0xb0
	v_mul_lo_u16_sdwa v1, v1, s0 dst_sel:DWORD dst_unused:UNUSED_PAD src0_sel:WORD_1 src1_sel:DWORD
	v_sub_u16_e32 v132, v0, v1
	buffer_store_dword v5, off, s[48:51], 0 ; 4-byte Folded Spill
	s_nop 0
	buffer_store_dword v6, off, s[48:51], 0 offset:4 ; 4-byte Folded Spill
	s_waitcnt lgkmcnt(0)
	v_mad_u64_u32 v[0:1], s[0:1], s10, v4, 0
	v_mad_u64_u32 v[2:3], s[0:1], s8, v132, 0
	v_lshlrev_b32_e32 v255, 4, v132
	s_mul_hi_u32 s6, s8, 0x2c00
	v_mad_u64_u32 v[4:5], s[0:1], s11, v4, v[1:2]
	s_mul_i32 s7, s8, 0x2c00
	v_lshlrev_b32_e32 v166, 5, v132
	v_mad_u64_u32 v[5:6], s[0:1], s9, v132, v[3:4]
	v_mov_b32_e32 v1, v4
	v_lshlrev_b64 v[0:1], 4, v[0:1]
	v_mov_b32_e32 v6, s19
	v_mov_b32_e32 v3, v5
	v_add_co_u32_e32 v4, vcc, s18, v0
	v_addc_co_u32_e32 v5, vcc, v6, v1, vcc
	v_lshlrev_b64 v[0:1], 4, v[2:3]
	v_mov_b32_e32 v2, s13
	v_add_co_u32_e32 v0, vcc, v4, v0
	v_addc_co_u32_e32 v1, vcc, v5, v1, vcc
	v_add_co_u32_e32 v161, vcc, s12, v255
	v_addc_co_u32_e64 v2, s[0:1], 0, v2, vcc
	s_mul_i32 s0, s9, 0x2c00
	s_add_i32 s6, s6, s0
	v_mov_b32_e32 v3, s6
	v_add_co_u32_e64 v4, s[0:1], s7, v0
	v_addc_co_u32_e64 v5, s[0:1], v1, v3, s[0:1]
	s_movk_i32 s0, 0x2000
	v_add_co_u32_e64 v24, s[0:1], s0, v161
	v_addc_co_u32_e64 v25, s[0:1], 0, v2, s[0:1]
	global_load_dwordx4 v[32:35], v[0:1], off
	global_load_dwordx4 v[36:39], v[4:5], off
	global_load_dwordx4 v[72:75], v[24:25], off offset:3072
	s_mul_hi_u32 s1, s8, 0xffffdf00
	s_mul_i32 s0, s9, 0xffffdf00
	s_sub_i32 s1, s1, s8
	s_add_i32 s9, s1, s0
	s_mulk_i32 s8, 0xdf00
	v_mov_b32_e32 v0, s9
	v_add_co_u32_e64 v4, s[0:1], s8, v4
	v_addc_co_u32_e64 v5, s[0:1], v5, v0, s[0:1]
	v_mov_b32_e32 v0, s6
	v_add_co_u32_e64 v6, s[0:1], s7, v4
	v_addc_co_u32_e64 v7, s[0:1], v5, v0, s[0:1]
	s_movk_i32 s0, 0x3000
	global_load_dwordx4 v[28:31], v255, s[12:13]
	global_load_dwordx4 v[16:19], v255, s[12:13] offset:2816
	global_load_dwordx4 v[40:43], v[4:5], off
	global_load_dwordx4 v[44:47], v[6:7], off
	v_add_co_u32_e64 v4, s[0:1], s0, v161
	v_addc_co_u32_e64 v5, s[0:1], 0, v2, s[0:1]
	v_mov_b32_e32 v0, s9
	v_add_co_u32_e64 v8, s[0:1], s8, v6
	v_addc_co_u32_e64 v9, s[0:1], v7, v0, s[0:1]
	s_movk_i32 s0, 0x1000
	global_load_dwordx4 v[20:23], v[4:5], off offset:1792
	v_add_co_u32_e64 v4, s[0:1], s0, v161
	v_addc_co_u32_e64 v5, s[0:1], 0, v2, s[0:1]
	v_mov_b32_e32 v0, s6
	v_add_co_u32_e64 v12, s[0:1], s7, v8
	v_addc_co_u32_e64 v13, s[0:1], v9, v0, s[0:1]
	s_movk_i32 s0, 0x4000
	v_add_co_u32_e64 v48, s[0:1], s0, v161
	v_addc_co_u32_e64 v49, s[0:1], 0, v2, s[0:1]
	v_mov_b32_e32 v0, s9
	v_add_co_u32_e64 v26, s[0:1], s8, v12
	v_addc_co_u32_e64 v27, s[0:1], v13, v0, s[0:1]
	v_mov_b32_e32 v0, s6
	v_add_co_u32_e64 v66, s[0:1], s7, v26
	v_addc_co_u32_e64 v67, s[0:1], v27, v0, s[0:1]
	global_load_dwordx4 v[50:53], v[8:9], off
	global_load_dwordx4 v[54:57], v[12:13], off
	s_movk_i32 s0, 0x1fc
	global_load_dwordx4 v[3:6], v[4:5], off offset:1536
	s_movk_i32 s1, 0x3fc
	global_load_dwordx4 v[7:10], v[48:49], off offset:512
	global_load_dwordx4 v[58:61], v[26:27], off
	global_load_dwordx4 v[11:14], v[24:25], off offset:256
	global_load_dwordx4 v[62:65], v[66:67], off
	s_nop 0
	global_load_dwordx4 v[24:27], v[48:49], off offset:3328
	s_waitcnt vmcnt(13)
	v_mul_f64 v[68:69], v[38:39], v[74:75]
	v_mul_f64 v[70:71], v[36:37], v[74:75]
	v_fma_f64 v[36:37], v[36:37], v[72:73], v[68:69]
	buffer_store_dword v72, off, s[48:51], 0 offset:8 ; 4-byte Folded Spill
	s_nop 0
	buffer_store_dword v73, off, s[48:51], 0 offset:12 ; 4-byte Folded Spill
	buffer_store_dword v74, off, s[48:51], 0 offset:16 ; 4-byte Folded Spill
	buffer_store_dword v75, off, s[48:51], 0 offset:20 ; 4-byte Folded Spill
	s_load_dwordx4 s[8:11], s[2:3], 0x0
	s_movk_i32 s2, 0x7f8
	s_movk_i32 s3, 0x80
	s_waitcnt vmcnt(16)
	v_mul_f64 v[48:49], v[34:35], v[30:31]
	v_mul_f64 v[66:67], v[32:33], v[30:31]
	s_waitcnt vmcnt(14)
	v_mul_f64 v[68:69], v[40:41], v[18:19]
	v_fma_f64 v[32:33], v[32:33], v[28:29], v[48:49]
	v_fma_f64 v[34:35], v[34:35], v[28:29], -v[66:67]
	v_mul_f64 v[66:67], v[42:43], v[18:19]
	v_add_u32_e32 v49, 0xb0, v132
	v_lshlrev_b32_e32 v48, 1, v132
	v_lshlrev_b32_e32 v0, 5, v49
	v_fma_f64 v[38:39], v[38:39], v[72:73], -v[70:71]
	s_waitcnt vmcnt(12)
	v_mul_f64 v[70:71], v[46:47], v[22:23]
	ds_write_b128 v255, v[32:35]
	ds_write_b128 v255, v[36:39] offset:11264
	v_fma_f64 v[32:33], v[40:41], v[16:17], v[66:67]
	s_waitcnt vmcnt(9)
	v_mul_f64 v[40:41], v[52:53], v[5:6]
	v_mul_f64 v[72:73], v[44:45], v[22:23]
	v_fma_f64 v[36:37], v[44:45], v[20:21], v[70:71]
	s_waitcnt vmcnt(8)
	v_mul_f64 v[44:45], v[56:57], v[9:10]
	v_fma_f64 v[34:35], v[42:43], v[16:17], -v[68:69]
	v_mul_f64 v[42:43], v[50:51], v[5:6]
	s_waitcnt vmcnt(6)
	v_mul_f64 v[66:67], v[60:61], v[13:14]
	s_waitcnt vmcnt(4)
	v_mul_f64 v[70:71], v[64:65], v[26:27]
	v_fma_f64 v[40:41], v[50:51], v[3:4], v[40:41]
	buffer_store_dword v3, off, s[48:51], 0 offset:24 ; 4-byte Folded Spill
	s_nop 0
	buffer_store_dword v4, off, s[48:51], 0 offset:28 ; 4-byte Folded Spill
	buffer_store_dword v5, off, s[48:51], 0 offset:32 ; 4-byte Folded Spill
	;; [unrolled: 1-line block ×3, first 2 shown]
	v_fma_f64 v[38:39], v[46:47], v[20:21], -v[72:73]
	v_mul_f64 v[46:47], v[54:55], v[9:10]
	v_fma_f64 v[44:45], v[54:55], v[7:8], v[44:45]
	buffer_store_dword v7, off, s[48:51], 0 offset:40 ; 4-byte Folded Spill
	s_nop 0
	buffer_store_dword v8, off, s[48:51], 0 offset:44 ; 4-byte Folded Spill
	buffer_store_dword v9, off, s[48:51], 0 offset:48 ; 4-byte Folded Spill
	buffer_store_dword v10, off, s[48:51], 0 offset:52 ; 4-byte Folded Spill
	v_mul_f64 v[68:69], v[58:59], v[13:14]
	v_mul_f64 v[72:73], v[62:63], v[26:27]
	v_add_u32_e32 v51, 0x210, v132
	v_add_u32_e32 v50, 0x2c0, v48
	v_lshlrev_b32_e32 v1, 4, v50
	v_fma_f64 v[42:43], v[52:53], v[3:4], -v[42:43]
	v_fma_f64 v[52:53], v[58:59], v[11:12], v[66:67]
	buffer_store_dword v11, off, s[48:51], 0 offset:56 ; 4-byte Folded Spill
	s_nop 0
	buffer_store_dword v12, off, s[48:51], 0 offset:60 ; 4-byte Folded Spill
	buffer_store_dword v13, off, s[48:51], 0 offset:64 ; 4-byte Folded Spill
	;; [unrolled: 1-line block ×3, first 2 shown]
	v_fma_f64 v[46:47], v[56:57], v[7:8], -v[46:47]
	v_fma_f64 v[56:57], v[62:63], v[24:25], v[70:71]
	buffer_store_dword v24, off, s[48:51], 0 offset:164 ; 4-byte Folded Spill
	s_nop 0
	buffer_store_dword v25, off, s[48:51], 0 offset:168 ; 4-byte Folded Spill
	buffer_store_dword v26, off, s[48:51], 0 offset:172 ; 4-byte Folded Spill
	;; [unrolled: 1-line block ×3, first 2 shown]
	ds_write_b128 v255, v[32:35] offset:2816
	ds_write_b128 v255, v[36:39] offset:14080
	;; [unrolled: 1-line block ×4, first 2 shown]
	v_fma_f64 v[54:55], v[60:61], v[11:12], -v[68:69]
	v_fma_f64 v[58:59], v[64:65], v[24:25], -v[72:73]
	ds_write_b128 v255, v[52:55] offset:8448
	ds_write_b128 v255, v[56:59] offset:19712
	s_waitcnt vmcnt(0) lgkmcnt(0)
	s_barrier
	ds_read_b128 v[32:35], v255
	ds_read_b128 v[36:39], v255 offset:2816
	ds_read_b128 v[40:43], v255 offset:11264
	;; [unrolled: 1-line block ×7, first 2 shown]
	s_waitcnt lgkmcnt(5)
	v_add_f64 v[40:41], v[32:33], -v[40:41]
	v_add_f64 v[42:43], v[34:35], -v[42:43]
	s_waitcnt lgkmcnt(4)
	v_add_f64 v[44:45], v[36:37], -v[44:45]
	v_add_f64 v[46:47], v[38:39], -v[46:47]
	;; [unrolled: 3-line block ×4, first 2 shown]
	v_fma_f64 v[32:33], v[32:33], 2.0, -v[40:41]
	v_fma_f64 v[34:35], v[34:35], 2.0, -v[42:43]
	;; [unrolled: 1-line block ×8, first 2 shown]
	s_barrier
	ds_write_b128 v166, v[32:35]
	ds_write_b128 v166, v[40:43] offset:16
	buffer_store_dword v0, off, s[48:51], 0 offset:76 ; 4-byte Folded Spill
	ds_write_b128 v0, v[44:47] offset:16
	v_lshlrev_b32_e32 v0, 4, v48
	ds_write_b128 v166, v[36:39] offset:5632
	ds_write_b128 v0, v[52:55] offset:11264
	v_lshlrev_b32_e32 v0, 5, v51
	ds_write_b128 v1, v[60:63] offset:16
	buffer_store_dword v0, off, s[48:51], 0 offset:84 ; 4-byte Folded Spill
	ds_write_b128 v0, v[64:67] offset:16
	v_and_b32_e32 v0, 1, v132
	buffer_store_dword v1, off, s[48:51], 0 offset:80 ; 4-byte Folded Spill
	v_lshlrev_b32_e32 v1, 4, v0
	ds_write_b128 v166, v[56:59] offset:16896
	s_waitcnt vmcnt(0) lgkmcnt(0)
	s_barrier
	global_load_dwordx4 v[32:35], v1, s[14:15]
	ds_read_b128 v[36:39], v255
	ds_read_b128 v[40:43], v255 offset:2816
	ds_read_b128 v[44:47], v255 offset:11264
	;; [unrolled: 1-line block ×7, first 2 shown]
	v_lshlrev_b32_e32 v61, 1, v49
	v_and_or_b32 v1, v48, s0, v0
	v_lshlrev_b32_e32 v2, 4, v1
	v_and_or_b32 v1, v61, s1, v0
	v_lshlrev_b32_e32 v60, 1, v51
	v_lshlrev_b32_e32 v1, 4, v1
	s_movk_i32 s0, 0x7fc
	s_waitcnt vmcnt(0) lgkmcnt(0)
	s_barrier
	buffer_store_dword v1, off, s[48:51], 0 offset:88 ; 4-byte Folded Spill
	buffer_store_dword v2, off, s[48:51], 0 offset:72 ; 4-byte Folded Spill
	s_movk_i32 s1, 0x3f8
	v_mul_f64 v[74:75], v[46:47], v[34:35]
	v_mul_f64 v[76:77], v[44:45], v[34:35]
	;; [unrolled: 1-line block ×8, first 2 shown]
	v_fma_f64 v[44:45], v[44:45], v[32:33], -v[74:75]
	v_fma_f64 v[46:47], v[46:47], v[32:33], v[76:77]
	v_fma_f64 v[52:53], v[52:53], v[32:33], -v[78:79]
	v_fma_f64 v[54:55], v[54:55], v[32:33], v[80:81]
	;; [unrolled: 2-line block ×4, first 2 shown]
	v_add_f64 v[44:45], v[36:37], -v[44:45]
	v_add_f64 v[46:47], v[38:39], -v[46:47]
	;; [unrolled: 1-line block ×8, first 2 shown]
	v_fma_f64 v[36:37], v[36:37], 2.0, -v[44:45]
	v_fma_f64 v[38:39], v[38:39], 2.0, -v[46:47]
	;; [unrolled: 1-line block ×8, first 2 shown]
	ds_write_b128 v2, v[44:47] offset:32
	ds_write_b128 v2, v[36:39]
	ds_write_b128 v1, v[52:55] offset:32
	ds_write_b128 v1, v[40:43]
	v_and_or_b32 v1, v50, s0, v0
	v_and_or_b32 v0, v60, s0, v0
	v_lshlrev_b32_e32 v1, 4, v1
	v_lshlrev_b32_e32 v0, 4, v0
	ds_write_b128 v1, v[56:59]
	ds_write_b128 v1, v[66:69] offset:32
	ds_write_b128 v0, v[62:65]
	buffer_store_dword v0, off, s[48:51], 0 offset:96 ; 4-byte Folded Spill
	ds_write_b128 v0, v[70:73] offset:32
	v_and_b32_e32 v0, 3, v132
	buffer_store_dword v1, off, s[48:51], 0 offset:92 ; 4-byte Folded Spill
	v_lshlrev_b32_e32 v1, 4, v0
	s_waitcnt vmcnt(0) lgkmcnt(0)
	s_barrier
	global_load_dwordx4 v[36:39], v1, s[14:15] offset:32
	ds_read_b128 v[40:43], v255
	ds_read_b128 v[44:47], v255 offset:2816
	ds_read_b128 v[52:55], v255 offset:11264
	;; [unrolled: 1-line block ×7, first 2 shown]
	s_movk_i32 s0, 0x1f8
	v_and_or_b32 v2, v48, s0, v0
	v_and_b32_e32 v1, 7, v132
	v_lshlrev_b32_e32 v6, 4, v2
	v_and_or_b32 v2, v61, s1, v0
	v_and_or_b32 v4, v50, s2, v0
	;; [unrolled: 1-line block ×3, first 2 shown]
	v_lshlrev_b32_e32 v3, 4, v1
	v_lshlrev_b32_e32 v5, 4, v2
	;; [unrolled: 1-line block ×4, first 2 shown]
	s_waitcnt vmcnt(0) lgkmcnt(0)
	s_barrier
	buffer_store_dword v6, off, s[48:51], 0 offset:112 ; 4-byte Folded Spill
	s_movk_i32 s0, 0x1f0
	s_movk_i32 s1, 0x3f0
	;; [unrolled: 1-line block ×3, first 2 shown]
	v_and_or_b32 v4, v50, s2, v1
	v_mul_f64 v[78:79], v[54:55], v[38:39]
	v_mul_f64 v[80:81], v[52:53], v[38:39]
	;; [unrolled: 1-line block ×8, first 2 shown]
	v_fma_f64 v[52:53], v[52:53], v[36:37], -v[78:79]
	v_fma_f64 v[54:55], v[54:55], v[36:37], v[80:81]
	v_fma_f64 v[56:57], v[56:57], v[36:37], -v[82:83]
	v_fma_f64 v[58:59], v[58:59], v[36:37], v[84:85]
	v_fma_f64 v[70:71], v[70:71], v[36:37], -v[86:87]
	v_fma_f64 v[72:73], v[72:73], v[36:37], v[88:89]
	v_fma_f64 v[74:75], v[74:75], v[36:37], -v[90:91]
	v_fma_f64 v[76:77], v[76:77], v[36:37], v[92:93]
	v_add_f64 v[52:53], v[40:41], -v[52:53]
	v_add_f64 v[54:55], v[42:43], -v[54:55]
	;; [unrolled: 1-line block ×8, first 2 shown]
	v_fma_f64 v[40:41], v[40:41], 2.0, -v[52:53]
	v_fma_f64 v[42:43], v[42:43], 2.0, -v[54:55]
	;; [unrolled: 1-line block ×8, first 2 shown]
	ds_write_b128 v6, v[52:55] offset:64
	ds_write_b128 v6, v[40:43]
	ds_write_b128 v5, v[44:47]
	buffer_store_dword v5, off, s[48:51], 0 offset:108 ; 4-byte Folded Spill
	ds_write_b128 v5, v[56:59] offset:64
	ds_write_b128 v2, v[62:65]
	buffer_store_dword v2, off, s[48:51], 0 offset:104 ; 4-byte Folded Spill
	ds_write_b128 v2, v[70:73] offset:64
	;; [unrolled: 3-line block ×3, first 2 shown]
	s_waitcnt vmcnt(0) lgkmcnt(0)
	s_barrier
	global_load_dwordx4 v[40:43], v3, s[14:15] offset:96
	ds_read_b128 v[44:47], v255
	ds_read_b128 v[52:55], v255 offset:2816
	ds_read_b128 v[56:59], v255 offset:11264
	;; [unrolled: 1-line block ×7, first 2 shown]
	v_and_or_b32 v2, v48, s0, v1
	v_and_b32_e32 v0, 15, v132
	v_lshlrev_b32_e32 v6, 4, v2
	v_and_or_b32 v2, v61, s1, v1
	v_and_or_b32 v1, v60, s2, v1
	v_lshlrev_b32_e32 v3, 4, v0
	v_lshlrev_b32_e32 v5, 4, v2
	;; [unrolled: 1-line block ×4, first 2 shown]
	s_waitcnt vmcnt(0) lgkmcnt(0)
	s_barrier
	buffer_store_dword v6, off, s[48:51], 0 offset:128 ; 4-byte Folded Spill
	v_and_b32_e32 v4, 31, v51
	s_movk_i32 s0, 0x1e0
	s_movk_i32 s1, 0x3e0
	;; [unrolled: 1-line block ×3, first 2 shown]
	v_mul_f64 v[82:83], v[58:59], v[42:43]
	v_mul_f64 v[84:85], v[56:57], v[42:43]
	v_mul_f64 v[86:87], v[64:65], v[42:43]
	v_mul_f64 v[88:89], v[62:63], v[42:43]
	v_mul_f64 v[90:91], v[76:77], v[42:43]
	v_mul_f64 v[92:93], v[74:75], v[42:43]
	v_mul_f64 v[94:95], v[80:81], v[42:43]
	v_mul_f64 v[96:97], v[78:79], v[42:43]
	v_fma_f64 v[56:57], v[56:57], v[40:41], -v[82:83]
	v_fma_f64 v[58:59], v[58:59], v[40:41], v[84:85]
	v_fma_f64 v[62:63], v[62:63], v[40:41], -v[86:87]
	v_fma_f64 v[64:65], v[64:65], v[40:41], v[88:89]
	;; [unrolled: 2-line block ×4, first 2 shown]
	v_add_f64 v[56:57], v[44:45], -v[56:57]
	v_add_f64 v[58:59], v[46:47], -v[58:59]
	;; [unrolled: 1-line block ×8, first 2 shown]
	v_fma_f64 v[44:45], v[44:45], 2.0, -v[56:57]
	v_fma_f64 v[46:47], v[46:47], 2.0, -v[58:59]
	;; [unrolled: 1-line block ×8, first 2 shown]
	ds_write_b128 v6, v[56:59] offset:128
	ds_write_b128 v6, v[44:47]
	ds_write_b128 v5, v[52:55]
	buffer_store_dword v5, off, s[48:51], 0 offset:124 ; 4-byte Folded Spill
	ds_write_b128 v5, v[62:65] offset:128
	ds_write_b128 v2, v[66:69]
	buffer_store_dword v2, off, s[48:51], 0 offset:120 ; 4-byte Folded Spill
	ds_write_b128 v2, v[74:77] offset:128
	;; [unrolled: 3-line block ×3, first 2 shown]
	s_waitcnt vmcnt(0) lgkmcnt(0)
	s_barrier
	global_load_dwordx4 v[44:47], v3, s[14:15] offset:224
	ds_read_b128 v[51:54], v255
	ds_read_b128 v[55:58], v255 offset:2816
	ds_read_b128 v[62:65], v255 offset:11264
	;; [unrolled: 1-line block ×7, first 2 shown]
	v_and_or_b32 v2, v48, s0, v0
	v_lshlrev_b32_e32 v7, 4, v2
	v_and_or_b32 v2, v61, s1, v0
	v_and_or_b32 v5, v50, s2, v0
	;; [unrolled: 1-line block ×3, first 2 shown]
	v_and_b32_e32 v1, 31, v132
	v_lshlrev_b32_e32 v6, 4, v2
	v_lshlrev_b32_e32 v2, 4, v5
	;; [unrolled: 1-line block ×4, first 2 shown]
	s_waitcnt vmcnt(0) lgkmcnt(0)
	s_barrier
	buffer_store_dword v7, off, s[48:51], 0 offset:144 ; 4-byte Folded Spill
	s_movk_i32 s0, 0x1c0
	s_movk_i32 s1, 0x3c0
	;; [unrolled: 1-line block ×3, first 2 shown]
	v_mul_f64 v[86:87], v[64:65], v[46:47]
	v_mul_f64 v[88:89], v[62:63], v[46:47]
	;; [unrolled: 1-line block ×8, first 2 shown]
	v_fma_f64 v[62:63], v[62:63], v[44:45], -v[86:87]
	v_fma_f64 v[64:65], v[64:65], v[44:45], v[88:89]
	v_fma_f64 v[66:67], v[66:67], v[44:45], -v[90:91]
	v_fma_f64 v[68:69], v[68:69], v[44:45], v[92:93]
	;; [unrolled: 2-line block ×4, first 2 shown]
	v_add_f64 v[62:63], v[51:52], -v[62:63]
	v_add_f64 v[64:65], v[53:54], -v[64:65]
	;; [unrolled: 1-line block ×8, first 2 shown]
	v_fma_f64 v[51:52], v[51:52], 2.0, -v[62:63]
	v_fma_f64 v[53:54], v[53:54], 2.0, -v[64:65]
	;; [unrolled: 1-line block ×8, first 2 shown]
	ds_write_b128 v7, v[62:65] offset:256
	ds_write_b128 v7, v[51:54]
	ds_write_b128 v6, v[55:58]
	buffer_store_dword v6, off, s[48:51], 0 offset:140 ; 4-byte Folded Spill
	ds_write_b128 v6, v[66:69] offset:256
	ds_write_b128 v2, v[78:81]
	buffer_store_dword v2, off, s[48:51], 0 offset:136 ; 4-byte Folded Spill
	ds_write_b128 v2, v[70:73] offset:256
	;; [unrolled: 3-line block ×3, first 2 shown]
	v_lshlrev_b32_e32 v0, 4, v4
	s_waitcnt vmcnt(0) lgkmcnt(0)
	s_barrier
	global_load_dwordx4 v[52:55], v3, s[14:15] offset:480
	global_load_dwordx4 v[56:59], v0, s[14:15] offset:480
	global_load_dwordx2 v[26:27], v0, s[14:15] offset:488
	v_and_b32_e32 v0, 31, v49
	v_lshlrev_b32_e32 v2, 4, v0
	global_load_dwordx2 v[24:25], v2, s[14:15] offset:480
	v_and_or_b32 v2, v48, s0, v1
	v_lshlrev_b32_e32 v5, 4, v2
	v_and_or_b32 v0, v61, s1, v0
	v_and_or_b32 v1, v50, s2, v1
	;; [unrolled: 1-line block ×3, first 2 shown]
	ds_read_b128 v[48:51], v255 offset:11264
	ds_read_b128 v[60:63], v255 offset:14080
	;; [unrolled: 1-line block ×4, first 2 shown]
	ds_read_b128 v[80:83], v255
	ds_read_b128 v[88:91], v255 offset:2816
	ds_read_b128 v[100:103], v255 offset:5632
	;; [unrolled: 1-line block ×3, first 2 shown]
	v_lshlrev_b32_e32 v3, 4, v0
	v_lshlrev_b32_e32 v1, 4, v1
	;; [unrolled: 1-line block ×3, first 2 shown]
	v_cmp_gt_u16_e64 s[0:1], s3, v132
	s_waitcnt vmcnt(0) lgkmcnt(0)
	s_barrier
	buffer_store_dword v5, off, s[48:51], 0 offset:160 ; 4-byte Folded Spill
	v_mul_f64 v[72:73], v[50:51], v[54:55]
	v_mul_f64 v[74:75], v[48:49], v[54:55]
	;; [unrolled: 1-line block ×8, first 2 shown]
	v_fma_f64 v[48:49], v[48:49], v[52:53], -v[72:73]
	v_fma_f64 v[50:51], v[50:51], v[52:53], v[74:75]
	v_fma_f64 v[60:61], v[60:61], v[24:25], -v[76:77]
	v_fma_f64 v[62:63], v[62:63], v[24:25], v[78:79]
	;; [unrolled: 2-line block ×4, first 2 shown]
	v_add_f64 v[72:73], v[80:81], -v[48:49]
	v_add_f64 v[74:75], v[82:83], -v[50:51]
	;; [unrolled: 1-line block ×8, first 2 shown]
	v_fma_f64 v[96:97], v[80:81], 2.0, -v[72:73]
	v_fma_f64 v[98:99], v[82:83], 2.0, -v[74:75]
	;; [unrolled: 1-line block ×8, first 2 shown]
	ds_write_b128 v5, v[72:75] offset:512
	ds_write_b128 v5, v[96:99]
	ds_write_b128 v3, v[80:83]
	buffer_store_dword v3, off, s[48:51], 0 offset:156 ; 4-byte Folded Spill
	ds_write_b128 v3, v[76:79] offset:512
	ds_write_b128 v1, v[88:91]
	buffer_store_dword v1, off, s[48:51], 0 offset:152 ; 4-byte Folded Spill
	ds_write_b128 v1, v[84:87] offset:512
	;; [unrolled: 3-line block ×3, first 2 shown]
	s_waitcnt vmcnt(0) lgkmcnt(0)
	s_barrier
	s_waitcnt lgkmcnt(0)
                                        ; implicit-def: $vgpr100_vgpr101
                                        ; implicit-def: $vgpr104_vgpr105
	s_and_saveexec_b64 s[2:3], s[0:1]
	s_cbranch_execz .LBB0_3
; %bb.2:
	ds_read_b128 v[96:99], v255
	ds_read_b128 v[72:75], v255 offset:2048
	ds_read_b128 v[80:83], v255 offset:4096
	;; [unrolled: 1-line block ×10, first 2 shown]
.LBB0_3:
	s_or_b64 exec, exec, s[2:3]
	v_mov_b32_e32 v49, s15
	v_and_b32_e32 v0, 63, v132
	s_movk_i32 s2, 0xa0
	v_mov_b32_e32 v48, s14
	v_mad_u64_u32 v[116:117], s[2:3], v0, s2, v[48:49]
	global_load_dwordx4 v[68:71], v[116:117], off offset:1040
	global_load_dwordx4 v[64:67], v[116:117], off offset:1024
	;; [unrolled: 1-line block ×4, first 2 shown]
	s_mov_b32 s16, 0xf8bb580b
	s_mov_b32 s17, 0xbfe14ced
	s_mov_b32 s2, 0x8764f0ba
	s_mov_b32 s18, 0x8eee2c13
	s_mov_b32 s3, 0x3feaeb8c
	s_mov_b32 s19, 0xbfed1bb4
	s_mov_b32 s6, 0xd9c712b6
	s_mov_b32 s7, 0x3fda9628
	s_mov_b32 s28, 0xbb3a28a1
	s_mov_b32 s29, 0xbfe82f19
	s_mov_b32 s22, 0x43842ef
	s_mov_b32 s24, 0x7f775887
	s_mov_b32 s23, 0xbfefac9e
	s_mov_b32 s25, 0xbfe4f49e
	s_mov_b32 s20, 0x640f44db
	s_mov_b32 s30, 0xfd768dbf
	s_mov_b32 s21, 0xbfc2375f
	s_mov_b32 s31, 0x3fd207e7
	s_mov_b32 s26, 0x9bcd5057
	s_mov_b32 s27, 0xbfeeb42a
	s_mov_b32 s35, 0x3fed1bb4
	s_mov_b32 s34, s18
	s_mov_b32 s39, 0x3fefac9e
	s_mov_b32 s38, s22
	s_mov_b32 s43, 0x3fe14ced
	s_mov_b32 s42, s16
	s_mov_b32 s41, 0xbfd207e7
	s_mov_b32 s40, s30
	s_waitcnt vmcnt(0) lgkmcnt(9)
	v_mul_f64 v[118:119], v[74:75], v[62:63]
	v_fma_f64 v[12:13], v[72:73], v[60:61], -v[118:119]
	v_mul_f64 v[72:73], v[72:73], v[62:63]
	v_fma_f64 v[14:15], v[74:75], v[60:61], v[72:73]
	s_waitcnt lgkmcnt(8)
	v_mul_f64 v[72:73], v[82:83], v[50:51]
	v_fma_f64 v[8:9], v[80:81], v[48:49], -v[72:73]
	v_mul_f64 v[72:73], v[80:81], v[50:51]
	v_fma_f64 v[10:11], v[82:83], v[48:49], v[72:73]
	s_waitcnt lgkmcnt(7)
	;; [unrolled: 5-line block ×3, first 2 shown]
	v_mul_f64 v[72:73], v[90:91], v[70:71]
	v_fma_f64 v[0:1], v[88:89], v[68:69], -v[72:73]
	v_mul_f64 v[72:73], v[88:89], v[70:71]
	v_fma_f64 v[4:5], v[90:91], v[68:69], v[72:73]
	global_load_dwordx4 v[72:75], v[116:117], off offset:1104
	global_load_dwordx4 v[76:79], v[116:117], off offset:1088
	global_load_dwordx4 v[80:83], v[116:117], off offset:1072
	global_load_dwordx4 v[88:91], v[116:117], off offset:1056
	s_waitcnt vmcnt(0) lgkmcnt(5)
	v_mul_f64 v[118:119], v[86:87], v[90:91]
	v_fma_f64 v[133:134], v[84:85], v[88:89], -v[118:119]
	v_mul_f64 v[84:85], v[84:85], v[90:91]
	v_fma_f64 v[139:140], v[86:87], v[88:89], v[84:85]
	s_waitcnt lgkmcnt(4)
	v_mul_f64 v[84:85], v[110:111], v[82:83]
	v_fma_f64 v[128:129], v[108:109], v[80:81], -v[84:85]
	v_mul_f64 v[84:85], v[108:109], v[82:83]
	v_add_f64 v[251:252], v[133:134], -v[128:129]
	v_fma_f64 v[130:131], v[110:111], v[80:81], v[84:85]
	s_waitcnt lgkmcnt(3)
	v_mul_f64 v[84:85], v[94:95], v[78:79]
	v_add_f64 v[249:250], v[133:134], v[128:129]
	v_mul_f64 v[243:244], v[251:252], s[42:43]
	v_add_f64 v[253:254], v[139:140], -v[130:131]
	v_fma_f64 v[124:125], v[92:93], v[76:77], -v[84:85]
	v_mul_f64 v[84:85], v[92:93], v[78:79]
	v_mul_f64 v[239:240], v[251:252], s[40:41]
	;; [unrolled: 1-line block ×4, first 2 shown]
	v_add_f64 v[219:220], v[0:1], v[124:125]
	v_fma_f64 v[126:127], v[94:95], v[76:77], v[84:85]
	s_waitcnt lgkmcnt(2)
	v_mul_f64 v[84:85], v[114:115], v[74:75]
	v_add_f64 v[223:224], v[0:1], -v[124:125]
	v_mul_f64 v[241:242], v[253:254], s[42:43]
	v_add_f64 v[227:228], v[4:5], -v[126:127]
	v_fma_f64 v[108:109], v[112:113], v[72:73], -v[84:85]
	v_mul_f64 v[84:85], v[112:113], v[74:75]
	v_add_f64 v[229:230], v[4:5], v[126:127]
	v_mul_f64 v[221:222], v[223:224], s[28:29]
	v_mul_f64 v[231:232], v[223:224], s[38:39]
	v_mul_f64 v[235:236], v[223:224], s[16:17]
	v_mul_f64 v[191:192], v[227:228], s[28:29]
	v_add_f64 v[209:210], v[2:3], v[108:109]
	v_fma_f64 v[110:111], v[114:115], v[72:73], v[84:85]
	global_load_dwordx4 v[84:87], v[116:117], off offset:1136
	global_load_dwordx4 v[92:95], v[116:117], off offset:1120
	v_add_f64 v[211:212], v[2:3], -v[108:109]
	v_mul_f64 v[225:226], v[227:228], s[38:39]
	v_mul_f64 v[233:234], v[227:228], s[16:17]
	s_waitcnt vmcnt(0) lgkmcnt(0)
	s_barrier
	v_add_f64 v[213:214], v[6:7], -v[110:111]
	v_add_f64 v[215:216], v[6:7], v[110:111]
	v_mul_f64 v[173:174], v[211:212], s[22:23]
	v_mul_f64 v[185:186], v[211:212], s[30:31]
	;; [unrolled: 1-line block ×7, first 2 shown]
	v_fma_f64 v[137:138], v[100:101], v[92:93], -v[112:113]
	v_mul_f64 v[100:101], v[100:101], v[94:95]
	v_add_f64 v[195:196], v[8:9], v[137:138]
	v_fma_f64 v[141:142], v[102:103], v[92:93], v[100:101]
	v_mul_f64 v[102:103], v[104:105], v[86:87]
	v_mul_f64 v[100:101], v[106:107], v[86:87]
	v_add_f64 v[197:198], v[8:9], -v[137:138]
	v_add_f64 v[199:200], v[10:11], -v[141:142]
	v_fma_f64 v[102:103], v[106:107], v[84:85], v[102:103]
	v_fma_f64 v[100:101], v[104:105], v[84:85], -v[100:101]
	v_add_f64 v[201:202], v[10:11], v[141:142]
	v_mul_f64 v[149:150], v[197:198], s[18:19]
	v_mul_f64 v[207:208], v[197:198], s[28:29]
	;; [unrolled: 1-line block ×4, first 2 shown]
	v_add_f64 v[177:178], v[14:15], -v[102:103]
	v_add_f64 v[167:168], v[12:13], v[100:101]
	v_add_f64 v[171:172], v[12:13], -v[100:101]
	v_add_f64 v[179:180], v[14:15], v[102:103]
	v_mul_f64 v[155:156], v[199:200], s[28:29]
	v_mul_f64 v[183:184], v[199:200], s[30:31]
	v_fma_f64 v[122:123], v[195:196], s[6:7], v[147:148]
	v_mul_f64 v[205:206], v[177:178], s[16:17]
	v_mul_f64 v[145:146], v[177:178], s[18:19]
	;; [unrolled: 1-line block ×6, first 2 shown]
	v_fma_f64 v[104:105], v[167:168], s[2:3], v[205:206]
	v_fma_f64 v[106:107], v[179:180], s[2:3], -v[135:136]
	v_add_f64 v[104:105], v[96:97], v[104:105]
	v_add_f64 v[112:113], v[98:99], v[106:107]
	v_fma_f64 v[106:107], v[167:168], s[6:7], v[145:146]
	v_add_f64 v[104:105], v[122:123], v[104:105]
	v_fma_f64 v[122:123], v[201:202], s[6:7], -v[149:150]
	v_add_f64 v[114:115], v[96:97], v[106:107]
	v_fma_f64 v[106:107], v[179:180], s[6:7], -v[217:218]
	v_add_f64 v[112:113], v[122:123], v[112:113]
	v_fma_f64 v[122:123], v[195:196], s[24:25], v[155:156]
	v_add_f64 v[116:117], v[98:99], v[106:107]
	v_fma_f64 v[106:107], v[167:168], s[20:21], v[151:152]
	v_add_f64 v[114:115], v[122:123], v[114:115]
	v_fma_f64 v[122:123], v[201:202], s[24:25], -v[207:208]
	v_add_f64 v[118:119], v[96:97], v[106:107]
	v_fma_f64 v[106:107], v[179:180], s[20:21], -v[181:182]
	v_add_f64 v[116:117], v[122:123], v[116:117]
	v_fma_f64 v[122:123], v[195:196], s[26:27], v[183:184]
	v_add_f64 v[120:121], v[98:99], v[106:107]
	v_add_f64 v[118:119], v[122:123], v[118:119]
	v_fma_f64 v[122:123], v[201:202], s[26:27], -v[189:190]
	v_add_f64 v[120:121], v[122:123], v[120:121]
	v_fma_f64 v[122:123], v[209:210], s[20:21], v[159:160]
	v_add_f64 v[104:105], v[122:123], v[104:105]
	v_fma_f64 v[122:123], v[215:216], s[20:21], -v[173:174]
	v_add_f64 v[112:113], v[122:123], v[112:113]
	v_fma_f64 v[122:123], v[209:210], s[26:27], v[175:176]
	;; [unrolled: 4-line block ×5, first 2 shown]
	v_fma_f64 v[112:113], v[249:250], s[26:27], v[237:238]
	v_add_f64 v[164:165], v[104:105], v[114:115]
	v_fma_f64 v[104:105], v[229:230], s[20:21], -v[231:232]
	v_add_f64 v[112:113], v[112:113], v[122:123]
	v_add_f64 v[245:246], v[104:105], v[116:117]
	v_fma_f64 v[104:105], v[219:220], s[2:3], v[233:234]
	v_fma_f64 v[116:117], v[249:250], s[2:3], v[241:242]
	v_add_f64 v[106:107], v[104:105], v[118:119]
	v_fma_f64 v[104:105], v[229:230], s[2:3], -v[235:236]
	v_add_f64 v[116:117], v[116:117], v[164:165]
	v_add_f64 v[169:170], v[104:105], v[120:121]
	;; [unrolled: 1-line block ×3, first 2 shown]
	v_fma_f64 v[118:119], v[104:105], s[2:3], -v[243:244]
	v_fma_f64 v[114:115], v[104:105], s[26:27], -v[239:240]
	v_add_f64 v[118:119], v[118:119], v[245:246]
	v_mul_f64 v[245:246], v[253:254], s[28:29]
	v_add_f64 v[114:115], v[114:115], v[162:163]
	v_fma_f64 v[120:121], v[249:250], s[24:25], v[245:246]
	v_add_f64 v[120:121], v[120:121], v[106:107]
	v_fma_f64 v[106:107], v[104:105], s[24:25], -v[247:248]
	v_add_f64 v[122:123], v[106:107], v[169:170]
	s_and_saveexec_b64 s[36:37], s[0:1]
	s_cbranch_execz .LBB0_5
; %bb.4:
	v_mul_f64 v[106:107], v[167:168], s[2:3]
	v_mul_f64 v[162:163], v[179:180], s[26:27]
	;; [unrolled: 1-line block ×5, first 2 shown]
	s_mov_b32 s45, 0x3fe82f19
	s_mov_b32 s44, s28
	v_mov_b32_e32 v158, v13
	buffer_store_dword v106, off, s[48:51], 0 offset:236 ; 4-byte Folded Spill
	s_nop 0
	buffer_store_dword v107, off, s[48:51], 0 offset:240 ; 4-byte Folded Spill
	v_mul_f64 v[106:107], v[179:180], s[2:3]
	v_mov_b32_e32 v157, v12
	v_mul_f64 v[169:170], v[104:105], s[2:3]
	v_mul_f64 v[203:204], v[201:202], s[26:27]
	buffer_store_dword v106, off, s[48:51], 0 offset:300 ; 4-byte Folded Spill
	s_nop 0
	buffer_store_dword v107, off, s[48:51], 0 offset:304 ; 4-byte Folded Spill
	v_mul_f64 v[106:107], v[167:168], s[6:7]
	buffer_store_dword v106, off, s[48:51], 0 offset:252 ; 4-byte Folded Spill
	s_nop 0
	buffer_store_dword v107, off, s[48:51], 0 offset:256 ; 4-byte Folded Spill
	buffer_store_dword v175, off, s[48:51], 0 offset:196 ; 4-byte Folded Spill
	s_nop 0
	buffer_store_dword v176, off, s[48:51], 0 offset:200 ; 4-byte Folded Spill
	v_mul_f64 v[106:107], v[167:168], s[20:21]
	buffer_store_dword v128, off, s[48:51], 0 offset:204 ; 4-byte Folded Spill
	s_nop 0
	buffer_store_dword v129, off, s[48:51], 0 offset:208 ; 4-byte Folded Spill
	v_mul_f64 v[175:176], v[179:180], s[6:7]
	v_mul_f64 v[128:129], v[215:216], s[6:7]
	buffer_store_dword v106, off, s[48:51], 0 offset:348 ; 4-byte Folded Spill
	s_nop 0
	buffer_store_dword v107, off, s[48:51], 0 offset:352 ; 4-byte Folded Spill
	buffer_store_dword v130, off, s[48:51], 0 offset:220 ; 4-byte Folded Spill
	s_nop 0
	buffer_store_dword v131, off, s[48:51], 0 offset:224 ; 4-byte Folded Spill
	v_mul_f64 v[106:107], v[195:196], s[6:7]
	v_mul_f64 v[130:131], v[179:180], s[20:21]
	buffer_store_dword v106, off, s[48:51], 0 offset:260 ; 4-byte Folded Spill
	s_nop 0
	buffer_store_dword v107, off, s[48:51], 0 offset:264 ; 4-byte Folded Spill
	v_mul_f64 v[106:107], v[201:202], s[6:7]
	buffer_store_dword v106, off, s[48:51], 0 offset:284 ; 4-byte Folded Spill
	s_nop 0
	buffer_store_dword v107, off, s[48:51], 0 offset:288 ; 4-byte Folded Spill
	;; [unrolled: 4-line block ×3, first 2 shown]
	buffer_store_dword v139, off, s[48:51], 0 offset:316 ; 4-byte Folded Spill
	s_nop 0
	buffer_store_dword v140, off, s[48:51], 0 offset:320 ; 4-byte Folded Spill
	v_mul_f64 v[106:107], v[201:202], s[24:25]
	v_mul_f64 v[139:140], v[229:230], s[2:3]
	buffer_store_dword v106, off, s[48:51], 0 offset:364 ; 4-byte Folded Spill
	s_nop 0
	buffer_store_dword v107, off, s[48:51], 0 offset:368 ; 4-byte Folded Spill
	buffer_store_dword v141, off, s[48:51], 0 offset:180 ; 4-byte Folded Spill
	s_nop 0
	buffer_store_dword v142, off, s[48:51], 0 offset:184 ; 4-byte Folded Spill
	v_mul_f64 v[106:107], v[209:210], s[20:21]
	v_add_f64 v[139:140], v[235:236], v[139:140]
	v_mul_f64 v[141:142], v[195:196], s[26:27]
	buffer_store_dword v106, off, s[48:51], 0 offset:228 ; 4-byte Folded Spill
	s_nop 0
	buffer_store_dword v107, off, s[48:51], 0 offset:232 ; 4-byte Folded Spill
	v_mul_f64 v[106:107], v[215:216], s[20:21]
	v_add_f64 v[141:142], v[141:142], -v[183:184]
	buffer_store_dword v106, off, s[48:51], 0 offset:268 ; 4-byte Folded Spill
	s_nop 0
	buffer_store_dword v107, off, s[48:51], 0 offset:272 ; 4-byte Folded Spill
	v_mul_f64 v[106:107], v[209:210], s[26:27]
	buffer_store_dword v106, off, s[48:51], 0 offset:292 ; 4-byte Folded Spill
	s_nop 0
	buffer_store_dword v107, off, s[48:51], 0 offset:296 ; 4-byte Folded Spill
	buffer_store_dword v137, off, s[48:51], 0 offset:188 ; 4-byte Folded Spill
	s_nop 0
	buffer_store_dword v138, off, s[48:51], 0 offset:192 ; 4-byte Folded Spill
	v_mul_f64 v[106:107], v[215:216], s[26:27]
	v_mov_b32_e32 v137, v155
	v_mov_b32_e32 v138, v156
	buffer_store_dword v106, off, s[48:51], 0 offset:356 ; 4-byte Folded Spill
	s_nop 0
	buffer_store_dword v107, off, s[48:51], 0 offset:360 ; 4-byte Folded Spill
	v_mul_f64 v[106:107], v[209:210], s[6:7]
	buffer_store_dword v106, off, s[48:51], 0 offset:340 ; 4-byte Folded Spill
	s_nop 0
	buffer_store_dword v107, off, s[48:51], 0 offset:344 ; 4-byte Folded Spill
	v_mul_f64 v[106:107], v[219:220], s[24:25]
	;; [unrolled: 4-line block ×5, first 2 shown]
	buffer_store_dword v106, off, s[48:51], 0 offset:412 ; 4-byte Folded Spill
	s_nop 0
	buffer_store_dword v107, off, s[48:51], 0 offset:416 ; 4-byte Folded Spill
	buffer_store_dword v110, off, s[48:51], 0 offset:332 ; 4-byte Folded Spill
	s_nop 0
	buffer_store_dword v111, off, s[48:51], 0 offset:336 ; 4-byte Folded Spill
	v_mul_f64 v[106:107], v[219:220], s[2:3]
	v_mul_f64 v[110:111], v[249:250], s[24:25]
	buffer_store_dword v106, off, s[48:51], 0 offset:404 ; 4-byte Folded Spill
	s_nop 0
	buffer_store_dword v107, off, s[48:51], 0 offset:408 ; 4-byte Folded Spill
	v_mul_f64 v[106:107], v[249:250], s[26:27]
	buffer_store_dword v106, off, s[48:51], 0 offset:324 ; 4-byte Folded Spill
	s_nop 0
	buffer_store_dword v107, off, s[48:51], 0 offset:328 ; 4-byte Folded Spill
	;; [unrolled: 4-line block ×4, first 2 shown]
	v_mov_b32_e32 v133, v145
	v_mov_b32_e32 v134, v146
	;; [unrolled: 1-line block ×4, first 2 shown]
	buffer_store_dword v106, off, s[48:51], 0 offset:380 ; 4-byte Folded Spill
	s_nop 0
	buffer_store_dword v107, off, s[48:51], 0 offset:384 ; 4-byte Folded Spill
	buffer_store_dword v173, off, s[48:51], 0 offset:420 ; 4-byte Folded Spill
	s_nop 0
	buffer_store_dword v174, off, s[48:51], 0 offset:424 ; 4-byte Folded Spill
	v_mul_f64 v[106:107], v[249:250], s[2:3]
	v_fma_f64 v[173:174], v[171:172], s[30:31], v[162:163]
	v_fma_f64 v[155:156], v[167:168], s[26:27], v[147:148]
	;; [unrolled: 1-line block ×4, first 2 shown]
	buffer_store_dword v106, off, s[48:51], 0 offset:388 ; 4-byte Folded Spill
	s_nop 0
	buffer_store_dword v107, off, s[48:51], 0 offset:392 ; 4-byte Folded Spill
	buffer_store_dword v108, off, s[48:51], 0 offset:396 ; 4-byte Folded Spill
	s_nop 0
	buffer_store_dword v109, off, s[48:51], 0 offset:400 ; 4-byte Folded Spill
	buffer_store_dword v126, off, s[48:51], 0 offset:444 ; 4-byte Folded Spill
	s_nop 0
	buffer_store_dword v127, off, s[48:51], 0 offset:448 ; 4-byte Folded Spill
	buffer_store_dword v100, off, s[48:51], 0 offset:372 ; 4-byte Folded Spill
	s_nop 0
	buffer_store_dword v101, off, s[48:51], 0 offset:376 ; 4-byte Folded Spill
	buffer_store_dword v124, off, s[48:51], 0 offset:452 ; 4-byte Folded Spill
	s_nop 0
	buffer_store_dword v125, off, s[48:51], 0 offset:456 ; 4-byte Folded Spill
	v_mov_b32_e32 v127, v1
	v_mov_b32_e32 v109, v3
	;; [unrolled: 1-line block ×5, first 2 shown]
	v_fma_f64 v[0:1], v[197:198], s[16:17], v[164:165]
	v_mov_b32_e32 v108, v2
	v_add_f64 v[2:3], v[98:99], v[173:174]
	v_mov_b32_e32 v124, v4
	v_mul_f64 v[4:5], v[213:214], s[28:29]
	v_mov_b32_e32 v106, v6
	v_fma_f64 v[6:7], v[195:196], s[2:3], v[153:154]
	v_add_f64 v[155:156], v[96:97], v[155:156]
	buffer_store_dword v102, off, s[48:51], 0 offset:428 ; 4-byte Folded Spill
	s_nop 0
	buffer_store_dword v103, off, s[48:51], 0 offset:432 ; 4-byte Folded Spill
	v_mov_b32_e32 v100, v159
	v_mov_b32_e32 v103, v11
	v_mov_b32_e32 v101, v160
	v_mov_b32_e32 v160, v15
	v_mul_f64 v[173:174], v[229:230], s[6:7]
	v_mov_b32_e32 v102, v10
	v_fma_f64 v[10:11], v[171:172], s[40:41], v[162:163]
	v_add_f64 v[0:1], v[0:1], v[2:3]
	v_mul_f64 v[162:163], v[227:228], s[34:35]
	v_fma_f64 v[12:13], v[209:210], s[24:25], v[4:5]
	v_mov_b32_e32 v159, v14
	v_fma_f64 v[14:15], v[167:168], s[26:27], -v[147:148]
	v_add_f64 v[6:7], v[6:7], v[155:156]
	v_mul_f64 v[2:3], v[104:105], s[20:21]
	v_fma_f64 v[147:148], v[197:198], s[42:43], v[164:165]
	v_add_f64 v[10:11], v[98:99], v[10:11]
	v_fma_f64 v[155:156], v[223:224], s[18:19], v[173:174]
	v_add_f64 v[0:1], v[8:9], v[0:1]
	v_mul_f64 v[8:9], v[253:254], s[22:23]
	v_fma_f64 v[153:154], v[195:196], s[2:3], -v[153:154]
	v_add_f64 v[14:15], v[96:97], v[14:15]
	v_add_f64 v[6:7], v[12:13], v[6:7]
	v_fma_f64 v[12:13], v[219:220], s[6:7], v[162:163]
	v_add_f64 v[10:11], v[147:148], v[10:11]
	v_fma_f64 v[147:148], v[251:252], s[38:39], v[2:3]
	;; [unrolled: 2-line block ×3, first 2 shown]
	v_fma_f64 v[4:5], v[209:210], s[24:25], -v[4:5]
	v_add_f64 v[14:15], v[153:154], v[14:15]
	v_fma_f64 v[153:154], v[223:224], s[34:35], v[173:174]
	v_add_f64 v[6:7], v[12:13], v[6:7]
	v_add_f64 v[10:11], v[143:144], v[10:11]
	v_mul_f64 v[143:144], v[179:180], s[24:25]
	v_add_f64 v[164:165], v[147:148], v[0:1]
	v_fma_f64 v[0:1], v[219:220], s[6:7], -v[162:163]
	v_mul_f64 v[179:180], v[229:230], s[26:27]
	v_add_f64 v[4:5], v[4:5], v[14:15]
	v_mul_f64 v[14:15], v[201:202], s[20:21]
	v_add_f64 v[162:163], v[155:156], v[6:7]
	v_mul_f64 v[6:7], v[177:178], s[28:29]
	v_add_f64 v[10:11], v[153:154], v[10:11]
	v_fma_f64 v[147:148], v[171:172], s[44:45], v[143:144]
	v_fma_f64 v[143:144], v[171:172], s[28:29], v[143:144]
	v_mul_f64 v[155:156], v[215:216], s[2:3]
	v_add_f64 v[0:1], v[0:1], v[4:5]
	v_mul_f64 v[4:5], v[199:200], s[38:39]
	v_fma_f64 v[173:174], v[197:198], s[22:23], v[14:15]
	v_fma_f64 v[153:154], v[167:168], s[24:25], v[6:7]
	v_mul_f64 v[171:172], v[213:214], s[16:17]
	v_add_f64 v[147:148], v[98:99], v[147:148]
	v_fma_f64 v[14:15], v[197:198], s[38:39], v[14:15]
	v_add_f64 v[143:144], v[98:99], v[143:144]
	v_fma_f64 v[199:200], v[211:212], s[42:43], v[155:156]
	v_fma_f64 v[177:178], v[195:196], s[20:21], v[4:5]
	;; [unrolled: 1-line block ×3, first 2 shown]
	v_add_f64 v[153:154], v[96:97], v[153:154]
	v_fma_f64 v[197:198], v[209:210], s[2:3], v[171:172]
	v_add_f64 v[147:148], v[173:174], v[147:148]
	v_mul_f64 v[173:174], v[227:228], s[40:41]
	v_fma_f64 v[6:7], v[167:168], s[24:25], -v[6:7]
	v_add_f64 v[14:15], v[14:15], v[143:144]
	v_mul_f64 v[12:13], v[104:105], s[24:25]
	v_fma_f64 v[2:3], v[251:252], s[22:23], v[2:3]
	v_add_f64 v[153:154], v[177:178], v[153:154]
	v_mul_f64 v[104:105], v[104:105], s[6:7]
	v_fma_f64 v[177:178], v[223:224], s[30:31], v[179:180]
	v_fma_f64 v[167:168], v[219:220], s[26:27], v[173:174]
	;; [unrolled: 1-line block ×3, first 2 shown]
	v_fma_f64 v[4:5], v[195:196], s[20:21], -v[4:5]
	v_add_f64 v[6:7], v[96:97], v[6:7]
	v_add_f64 v[14:15], v[155:156], v[14:15]
	v_add_f64 v[153:154], v[197:198], v[153:154]
	v_fma_f64 v[8:9], v[249:250], s[20:21], -v[8:9]
	v_add_f64 v[143:144], v[199:200], v[147:148]
	v_fma_f64 v[155:156], v[251:252], s[18:19], v[104:105]
	v_fma_f64 v[104:105], v[251:252], s[34:35], v[104:105]
	v_add_f64 v[12:13], v[247:248], v[12:13]
	v_add_f64 v[4:5], v[4:5], v[6:7]
	;; [unrolled: 1-line block ×4, first 2 shown]
	v_fma_f64 v[167:168], v[209:210], s[2:3], -v[171:172]
	v_add_f64 v[179:180], v[2:3], v[10:11]
	v_add_f64 v[2:3], v[181:182], v[130:131]
	;; [unrolled: 1-line block ×4, first 2 shown]
	v_fma_f64 v[0:1], v[219:220], s[26:27], -v[173:174]
	v_add_f64 v[104:105], v[104:105], v[6:7]
	v_add_f64 v[6:7], v[189:190], v[203:204]
	;; [unrolled: 1-line block ×8, first 2 shown]
	v_mul_f64 v[147:148], v[253:254], s[34:35]
	v_add_f64 v[0:1], v[0:1], v[4:5]
	v_add_f64 v[4:5], v[193:194], v[128:129]
	buffer_load_dword v128, off, s[48:51], 0 offset:348 ; 4-byte Folded Reload
	buffer_load_dword v129, off, s[48:51], 0 offset:352 ; 4-byte Folded Reload
	v_add_f64 v[2:3], v[6:7], v[2:3]
	buffer_load_dword v6, off, s[48:51], 0 offset:364 ; 4-byte Folded Reload
	buffer_load_dword v7, off, s[48:51], 0 offset:368 ; 4-byte Folded Reload
	v_add_f64 v[14:15], v[14:15], v[102:103]
	v_add_f64 v[10:11], v[98:99], v[10:11]
	;; [unrolled: 1-line block ×3, first 2 shown]
	v_fma_f64 v[8:9], v[249:250], s[6:7], -v[147:148]
	v_fma_f64 v[195:196], v[249:250], s[6:7], v[147:148]
	v_add_f64 v[2:3], v[4:5], v[2:3]
	buffer_load_dword v4, off, s[48:51], 0 offset:356 ; 4-byte Folded Reload
	buffer_load_dword v5, off, s[48:51], 0 offset:360 ; 4-byte Folded Reload
	;; [unrolled: 1-line block ×4, first 2 shown]
	v_add_f64 v[195:196], v[195:196], v[153:154]
	v_add_f64 v[2:3], v[139:140], v[2:3]
	s_waitcnt vmcnt(6)
	v_add_f64 v[128:129], v[128:129], -v[151:152]
	s_waitcnt vmcnt(4)
	v_add_f64 v[6:7], v[207:208], v[6:7]
	v_add_f64 v[128:129], v[96:97], v[128:129]
	;; [unrolled: 1-line block ×5, first 2 shown]
	s_waitcnt vmcnt(0)
	v_add_f64 v[130:131], v[102:103], -v[187:188]
	buffer_load_dword v102, off, s[48:51], 0 offset:412 ; 4-byte Folded Reload
	buffer_load_dword v103, off, s[48:51], 0 offset:416 ; 4-byte Folded Reload
	v_add_f64 v[4:5], v[185:186], v[4:5]
	v_add_f64 v[128:129], v[141:142], v[128:129]
	;; [unrolled: 1-line block ×5, first 2 shown]
	v_add_f64 v[14:15], v[110:111], -v[245:246]
	v_add_f64 v[110:111], v[130:131], v[128:129]
	v_add_f64 v[128:129], v[243:244], v[169:170]
	s_waitcnt vmcnt(0)
	v_add_f64 v[139:140], v[231:232], v[102:103]
	buffer_load_dword v102, off, s[48:51], 0 offset:404 ; 4-byte Folded Reload
	buffer_load_dword v103, off, s[48:51], 0 offset:408 ; 4-byte Folded Reload
	v_add_f64 v[4:5], v[139:140], v[4:5]
	s_waitcnt vmcnt(0)
	v_add_f64 v[108:109], v[102:103], -v[233:234]
	buffer_load_dword v102, off, s[48:51], 0 offset:300 ; 4-byte Folded Reload
	buffer_load_dword v103, off, s[48:51], 0 offset:304 ; 4-byte Folded Reload
	v_add_f64 v[110:111], v[108:109], v[110:111]
	v_add_f64 v[108:109], v[128:129], v[4:5]
	s_waitcnt vmcnt(0)
	v_add_f64 v[130:131], v[135:136], v[102:103]
	buffer_load_dword v102, off, s[48:51], 0 offset:316 ; 4-byte Folded Reload
	buffer_load_dword v103, off, s[48:51], 0 offset:320 ; 4-byte Folded Reload
	v_add_f64 v[98:99], v[98:99], v[130:131]
	s_waitcnt vmcnt(0)
	v_add_f64 v[6:7], v[6:7], v[102:103]
	buffer_load_dword v102, off, s[48:51], 0 offset:460 ; 4-byte Folded Reload
	buffer_load_dword v103, off, s[48:51], 0 offset:464 ; 4-byte Folded Reload
	s_waitcnt vmcnt(0)
	v_add_f64 v[10:11], v[10:11], v[102:103]
	buffer_load_dword v102, off, s[48:51], 0 offset:236 ; 4-byte Folded Reload
	buffer_load_dword v103, off, s[48:51], 0 offset:240 ; 4-byte Folded Reload
	s_waitcnt vmcnt(0)
	v_add_f64 v[139:140], v[102:103], -v[205:206]
	buffer_load_dword v102, off, s[48:51], 0 offset:252 ; 4-byte Folded Reload
	buffer_load_dword v103, off, s[48:51], 0 offset:256 ; 4-byte Folded Reload
	v_add_f64 v[139:140], v[96:97], v[139:140]
	s_waitcnt vmcnt(0)
	v_add_f64 v[141:142], v[102:103], -v[133:134]
	buffer_load_dword v102, off, s[48:51], 0 offset:308 ; 4-byte Folded Reload
	buffer_load_dword v103, off, s[48:51], 0 offset:312 ; 4-byte Folded Reload
	v_add_f64 v[96:97], v[96:97], v[141:142]
	;; [unrolled: 5-line block ×3, first 2 shown]
	s_waitcnt vmcnt(0)
	v_add_f64 v[135:136], v[149:150], v[102:103]
	buffer_load_dword v102, off, s[48:51], 0 offset:260 ; 4-byte Folded Reload
	buffer_load_dword v103, off, s[48:51], 0 offset:264 ; 4-byte Folded Reload
	;; [unrolled: 1-line block ×4, first 2 shown]
	v_add_f64 v[98:99], v[135:136], v[98:99]
	s_waitcnt vmcnt(0)
	v_add_f64 v[130:131], v[102:103], -v[106:107]
	buffer_load_dword v102, off, s[48:51], 0 offset:220 ; 4-byte Folded Reload
	buffer_load_dword v103, off, s[48:51], 0 offset:224 ; 4-byte Folded Reload
	v_add_f64 v[130:131], v[130:131], v[139:140]
	s_waitcnt vmcnt(0)
	v_add_f64 v[6:7], v[6:7], v[102:103]
	buffer_load_dword v102, off, s[48:51], 0 offset:204 ; 4-byte Folded Reload
	buffer_load_dword v103, off, s[48:51], 0 offset:208 ; 4-byte Folded Reload
	s_waitcnt vmcnt(0)
	v_add_f64 v[10:11], v[10:11], v[102:103]
	buffer_load_dword v102, off, s[48:51], 0 offset:196 ; 4-byte Folded Reload
	buffer_load_dword v103, off, s[48:51], 0 offset:200 ; 4-byte Folded Reload
	;; [unrolled: 1-line block ×4, first 2 shown]
	s_waitcnt vmcnt(0)
	v_add_f64 v[141:142], v[106:107], -v[102:103]
	buffer_load_dword v102, off, s[48:51], 0 offset:268 ; 4-byte Folded Reload
	buffer_load_dword v103, off, s[48:51], 0 offset:272 ; 4-byte Folded Reload
	;; [unrolled: 1-line block ×4, first 2 shown]
	v_add_f64 v[96:97], v[141:142], v[96:97]
	s_waitcnt vmcnt(0)
	v_add_f64 v[143:144], v[106:107], v[102:103]
	buffer_load_dword v102, off, s[48:51], 0 offset:228 ; 4-byte Folded Reload
	buffer_load_dword v103, off, s[48:51], 0 offset:232 ; 4-byte Folded Reload
	v_add_f64 v[98:99], v[143:144], v[98:99]
	s_waitcnt vmcnt(0)
	v_add_f64 v[135:136], v[102:103], -v[100:101]
	buffer_load_dword v100, off, s[48:51], 0 offset:444 ; 4-byte Folded Reload
	buffer_load_dword v101, off, s[48:51], 0 offset:448 ; 4-byte Folded Reload
	v_add_f64 v[102:103], v[8:9], v[0:1]
	v_lshrrev_b32_e32 v0, 6, v132
	v_mul_u32_u24_e32 v0, 0x2c0, v0
	v_and_b32_e32 v1, 63, v132
	v_or_b32_e32 v0, v0, v1
	v_lshlrev_b32_e32 v0, 4, v0
	v_add_f64 v[130:131], v[135:136], v[130:131]
	s_waitcnt vmcnt(0)
	v_add_f64 v[6:7], v[6:7], v[100:101]
	buffer_load_dword v100, off, s[48:51], 0 offset:452 ; 4-byte Folded Reload
	buffer_load_dword v101, off, s[48:51], 0 offset:456 ; 4-byte Folded Reload
	s_waitcnt vmcnt(0)
	v_add_f64 v[10:11], v[10:11], v[100:101]
	buffer_load_dword v100, off, s[48:51], 0 offset:276 ; 4-byte Folded Reload
	buffer_load_dword v101, off, s[48:51], 0 offset:280 ; 4-byte Folded Reload
	s_waitcnt vmcnt(0)
	v_add_f64 v[106:107], v[100:101], -v[225:226]
	buffer_load_dword v100, off, s[48:51], 0 offset:244 ; 4-byte Folded Reload
	buffer_load_dword v101, off, s[48:51], 0 offset:248 ; 4-byte Folded Reload
	v_add_f64 v[96:97], v[106:107], v[96:97]
	s_waitcnt vmcnt(0)
	v_add_f64 v[137:138], v[221:222], v[100:101]
	buffer_load_dword v100, off, s[48:51], 0 offset:212 ; 4-byte Folded Reload
	buffer_load_dword v101, off, s[48:51], 0 offset:216 ; 4-byte Folded Reload
	v_add_f64 v[135:136], v[137:138], v[98:99]
	s_waitcnt vmcnt(0)
	v_add_f64 v[139:140], v[100:101], -v[191:192]
	buffer_load_dword v100, off, s[48:51], 0 offset:332 ; 4-byte Folded Reload
	buffer_load_dword v101, off, s[48:51], 0 offset:336 ; 4-byte Folded Reload
	v_add_f64 v[139:140], v[139:140], v[130:131]
	s_waitcnt vmcnt(0)
	v_add_f64 v[6:7], v[6:7], v[100:101]
	buffer_load_dword v100, off, s[48:51], 0 offset:396 ; 4-byte Folded Reload
	buffer_load_dword v101, off, s[48:51], 0 offset:400 ; 4-byte Folded Reload
	s_waitcnt vmcnt(0)
	v_add_f64 v[10:11], v[10:11], v[100:101]
	buffer_load_dword v100, off, s[48:51], 0 offset:388 ; 4-byte Folded Reload
	buffer_load_dword v101, off, s[48:51], 0 offset:392 ; 4-byte Folded Reload
	s_waitcnt vmcnt(0)
	v_add_f64 v[141:142], v[100:101], -v[241:242]
	buffer_load_dword v100, off, s[48:51], 0 offset:380 ; 4-byte Folded Reload
	buffer_load_dword v101, off, s[48:51], 0 offset:384 ; 4-byte Folded Reload
	;; [unrolled: 1-line block ×4, first 2 shown]
	v_add_f64 v[106:107], v[141:142], v[96:97]
	v_add_f64 v[96:97], v[14:15], v[110:111]
	s_waitcnt vmcnt(2)
	v_add_f64 v[133:134], v[239:240], v[100:101]
	s_waitcnt vmcnt(0)
	v_add_f64 v[137:138], v[98:99], -v[237:238]
	buffer_load_dword v98, off, s[48:51], 0 offset:180 ; 4-byte Folded Reload
	buffer_load_dword v99, off, s[48:51], 0 offset:184 ; 4-byte Folded Reload
	v_add_f64 v[130:131], v[133:134], v[135:136]
	v_add_f64 v[128:129], v[137:138], v[139:140]
	s_waitcnt vmcnt(0)
	v_add_f64 v[6:7], v[6:7], v[98:99]
	buffer_load_dword v98, off, s[48:51], 0 offset:188 ; 4-byte Folded Reload
	buffer_load_dword v99, off, s[48:51], 0 offset:192 ; 4-byte Folded Reload
	s_waitcnt vmcnt(0)
	v_add_f64 v[10:11], v[10:11], v[98:99]
	v_add_f64 v[98:99], v[12:13], v[2:3]
	buffer_load_dword v2, off, s[48:51], 0 offset:428 ; 4-byte Folded Reload
	buffer_load_dword v3, off, s[48:51], 0 offset:432 ; 4-byte Folded Reload
	s_waitcnt vmcnt(0)
	v_add_f64 v[135:136], v[6:7], v[2:3]
	buffer_load_dword v2, off, s[48:51], 0 offset:372 ; 4-byte Folded Reload
	buffer_load_dword v3, off, s[48:51], 0 offset:376 ; 4-byte Folded Reload
	s_waitcnt vmcnt(0)
	v_add_f64 v[133:134], v[10:11], v[2:3]
	ds_write_b128 v0, v[133:136]
	ds_write_b128 v0, v[128:131] offset:1024
	ds_write_b128 v0, v[106:109] offset:2048
	;; [unrolled: 1-line block ×10, first 2 shown]
.LBB0_5:
	s_or_b64 exec, exec, s[36:37]
	v_mov_b32_e32 v0, s15
	v_add_co_u32_e64 v4, s[2:3], s14, v255
	v_addc_co_u32_e64 v5, s[2:3], 0, v0, s[2:3]
	s_movk_i32 s2, 0x2000
	v_add_co_u32_e64 v0, s[2:3], s2, v4
	v_addc_co_u32_e64 v1, s[2:3], 0, v5, s[2:3]
	s_movk_i32 s2, 0x3000
	v_add_co_u32_e64 v2, s[2:3], s2, v4
	v_addc_co_u32_e64 v3, s[2:3], 0, v5, s[2:3]
	s_movk_i32 s2, 0x4000
	s_waitcnt lgkmcnt(0)
	s_barrier
	global_load_dwordx4 v[96:99], v[0:1], off offset:3040
	global_load_dwordx4 v[100:103], v[2:3], off offset:1760
	v_add_co_u32_e64 v0, s[2:3], s2, v4
	v_addc_co_u32_e64 v1, s[2:3], 0, v5, s[2:3]
	global_load_dwordx4 v[104:107], v[0:1], off offset:480
	global_load_dwordx4 v[108:111], v[0:1], off offset:3296
	ds_read_b128 v[128:131], v255
	ds_read_b128 v[133:136], v255 offset:2816
	ds_read_b128 v[137:140], v255 offset:11264
	;; [unrolled: 1-line block ×7, first 2 shown]
	v_mov_b32_e32 v0, s13
	s_movk_i32 s2, 0x5800
	v_addc_co_u32_e32 v173, vcc, 0, v0, vcc
	v_add_co_u32_e32 v0, vcc, s2, v161
	s_movk_i32 s3, 0x5000
	v_addc_co_u32_e32 v1, vcc, 0, v173, vcc
	v_add_co_u32_e32 v2, vcc, s3, v161
	s_mov_b32 s6, 0x8000
	v_addc_co_u32_e32 v3, vcc, 0, v173, vcc
	v_add_co_u32_e32 v4, vcc, s6, v161
	s_movk_i32 s7, 0x6000
	v_addc_co_u32_e32 v5, vcc, 0, v173, vcc
	v_add_co_u32_e32 v6, vcc, s7, v161
	s_mov_b32 s12, 0x9000
	v_addc_co_u32_e32 v7, vcc, 0, v173, vcc
	v_add_co_u32_e32 v8, vcc, s12, v161
	s_movk_i32 s13, 0x7000
	v_addc_co_u32_e32 v9, vcc, 0, v173, vcc
	s_mov_b32 s14, 0xa000
	s_waitcnt vmcnt(3) lgkmcnt(5)
	v_mul_f64 v[10:11], v[139:140], v[98:99]
	v_mul_f64 v[12:13], v[137:138], v[98:99]
	s_waitcnt vmcnt(2) lgkmcnt(4)
	v_mul_f64 v[14:15], v[143:144], v[102:103]
	v_mul_f64 v[162:163], v[141:142], v[102:103]
	;; [unrolled: 3-line block ×4, first 2 shown]
	v_fma_f64 v[10:11], v[137:138], v[96:97], -v[10:11]
	v_fma_f64 v[12:13], v[139:140], v[96:97], v[12:13]
	v_fma_f64 v[14:15], v[141:142], v[100:101], -v[14:15]
	v_fma_f64 v[143:144], v[143:144], v[100:101], v[162:163]
	;; [unrolled: 2-line block ×4, first 2 shown]
	v_add_f64 v[137:138], v[128:129], -v[10:11]
	v_add_f64 v[139:140], v[130:131], -v[12:13]
	;; [unrolled: 1-line block ×8, first 2 shown]
	v_fma_f64 v[128:129], v[128:129], 2.0, -v[137:138]
	v_fma_f64 v[130:131], v[130:131], 2.0, -v[139:140]
	;; [unrolled: 1-line block ×8, first 2 shown]
	ds_write_b128 v255, v[137:140] offset:11264
	ds_write_b128 v255, v[141:144] offset:14080
	;; [unrolled: 1-line block ×4, first 2 shown]
	ds_write_b128 v255, v[128:131]
	ds_write_b128 v255, v[133:136] offset:2816
	ds_write_b128 v255, v[145:148] offset:5632
	;; [unrolled: 1-line block ×3, first 2 shown]
	s_waitcnt lgkmcnt(0)
	s_barrier
	global_load_dwordx4 v[128:131], v[4:5], off offset:1024
	global_load_dwordx4 v[133:136], v[2:3], off offset:2048
	;; [unrolled: 1-line block ×3, first 2 shown]
	v_add_co_u32_e32 v0, vcc, s13, v161
	v_addc_co_u32_e32 v1, vcc, 0, v173, vcc
	global_load_dwordx4 v[141:144], v[4:5], off offset:3840
	global_load_dwordx4 v[145:148], v[6:7], off offset:3584
	;; [unrolled: 1-line block ×4, first 2 shown]
	v_add_co_u32_e32 v0, vcc, s14, v161
	v_addc_co_u32_e32 v1, vcc, 0, v173, vcc
	global_load_dwordx4 v[157:160], v[0:1], off offset:1280
	ds_read_b128 v[161:164], v255
	ds_read_b128 v[167:170], v255 offset:2816
	ds_read_b128 v[171:174], v255 offset:11264
	;; [unrolled: 1-line block ×7, first 2 shown]
	s_waitcnt vmcnt(7) lgkmcnt(5)
	v_mul_f64 v[4:5], v[173:174], v[130:131]
	s_waitcnt vmcnt(6)
	v_mul_f64 v[0:1], v[163:164], v[135:136]
	v_mul_f64 v[2:3], v[161:162], v[135:136]
	;; [unrolled: 1-line block ×3, first 2 shown]
	s_waitcnt vmcnt(5)
	v_mul_f64 v[8:9], v[169:170], v[139:140]
	v_mul_f64 v[10:11], v[167:168], v[139:140]
	s_waitcnt vmcnt(4) lgkmcnt(4)
	v_mul_f64 v[12:13], v[177:178], v[143:144]
	v_mul_f64 v[14:15], v[175:176], v[143:144]
	s_waitcnt vmcnt(3) lgkmcnt(3)
	;; [unrolled: 3-line block ×3, first 2 shown]
	v_mul_f64 v[195:196], v[189:190], v[151:152]
	v_mul_f64 v[151:152], v[187:188], v[151:152]
	s_waitcnt vmcnt(1)
	v_mul_f64 v[197:198], v[185:186], v[155:156]
	v_mul_f64 v[155:156], v[183:184], v[155:156]
	s_waitcnt vmcnt(0) lgkmcnt(0)
	v_mul_f64 v[199:200], v[193:194], v[159:160]
	v_mul_f64 v[201:202], v[191:192], v[159:160]
	v_fma_f64 v[159:160], v[161:162], v[133:134], -v[0:1]
	v_fma_f64 v[161:162], v[163:164], v[133:134], v[2:3]
	v_fma_f64 v[133:134], v[171:172], v[128:129], -v[4:5]
	v_fma_f64 v[135:136], v[173:174], v[128:129], v[6:7]
	;; [unrolled: 2-line block ×8, first 2 shown]
	ds_write_b128 v255, v[159:162]
	ds_write_b128 v255, v[133:136] offset:11264
	ds_write_b128 v255, v[128:131] offset:2816
	;; [unrolled: 1-line block ×7, first 2 shown]
	s_waitcnt lgkmcnt(0)
	s_barrier
	ds_read_b128 v[128:131], v255
	ds_read_b128 v[133:136], v255 offset:2816
	ds_read_b128 v[137:140], v255 offset:11264
	;; [unrolled: 1-line block ×7, first 2 shown]
	s_waitcnt lgkmcnt(5)
	v_add_f64 v[137:138], v[128:129], -v[137:138]
	v_add_f64 v[139:140], v[130:131], -v[139:140]
	s_waitcnt lgkmcnt(0)
	s_barrier
	v_add_f64 v[141:142], v[133:134], -v[141:142]
	v_add_f64 v[143:144], v[135:136], -v[143:144]
	;; [unrolled: 1-line block ×3, first 2 shown]
	v_fma_f64 v[128:129], v[128:129], 2.0, -v[137:138]
	v_fma_f64 v[130:131], v[130:131], 2.0, -v[139:140]
	ds_write_b128 v166, v[137:140] offset:16
	ds_write_b128 v166, v[128:131]
	buffer_load_dword v0, off, s[48:51], 0 offset:76 ; 4-byte Folded Reload
	v_fma_f64 v[133:134], v[133:134], 2.0, -v[141:142]
	v_fma_f64 v[135:136], v[135:136], 2.0, -v[143:144]
	v_add_f64 v[155:156], v[147:148], -v[155:156]
	v_fma_f64 v[145:146], v[145:146], 2.0, -v[153:154]
	v_add_f64 v[157:158], v[149:150], -v[157:158]
	v_add_f64 v[159:160], v[151:152], -v[159:160]
	s_waitcnt vmcnt(0)
	ds_write_b128 v0, v[133:136]
	ds_write_b128 v0, v[141:144] offset:16
	buffer_load_dword v0, off, s[48:51], 0 offset:80 ; 4-byte Folded Reload
	v_fma_f64 v[147:148], v[147:148], 2.0, -v[155:156]
	v_fma_f64 v[149:150], v[149:150], 2.0, -v[157:158]
	;; [unrolled: 1-line block ×3, first 2 shown]
	s_waitcnt vmcnt(0)
	ds_write_b128 v0, v[145:148]
	ds_write_b128 v0, v[153:156] offset:16
	buffer_load_dword v0, off, s[48:51], 0 offset:84 ; 4-byte Folded Reload
	s_waitcnt vmcnt(0)
	ds_write_b128 v0, v[149:152]
	ds_write_b128 v0, v[157:160] offset:16
	s_waitcnt lgkmcnt(0)
	s_barrier
	ds_read_b128 v[128:131], v255
	ds_read_b128 v[133:136], v255 offset:2816
	ds_read_b128 v[137:140], v255 offset:11264
	;; [unrolled: 1-line block ×7, first 2 shown]
	s_waitcnt lgkmcnt(5)
	v_mul_f64 v[0:1], v[34:35], v[139:140]
	v_mul_f64 v[2:3], v[34:35], v[137:138]
	s_waitcnt lgkmcnt(4)
	v_mul_f64 v[4:5], v[34:35], v[143:144]
	v_mul_f64 v[6:7], v[34:35], v[141:142]
	s_waitcnt lgkmcnt(1)
	v_mul_f64 v[8:9], v[34:35], v[155:156]
	v_mul_f64 v[10:11], v[34:35], v[153:154]
	s_waitcnt lgkmcnt(0)
	v_mul_f64 v[12:13], v[34:35], v[159:160]
	v_mul_f64 v[14:15], v[34:35], v[157:158]
	v_fma_f64 v[0:1], v[32:33], v[137:138], v[0:1]
	s_barrier
	v_fma_f64 v[2:3], v[32:33], v[139:140], -v[2:3]
	v_fma_f64 v[4:5], v[32:33], v[141:142], v[4:5]
	v_fma_f64 v[6:7], v[32:33], v[143:144], -v[6:7]
	v_fma_f64 v[8:9], v[32:33], v[153:154], v[8:9]
	;; [unrolled: 2-line block ×3, first 2 shown]
	v_fma_f64 v[14:15], v[32:33], v[159:160], -v[14:15]
	v_add_f64 v[32:33], v[128:129], -v[0:1]
	buffer_load_dword v0, off, s[48:51], 0 offset:72 ; 4-byte Folded Reload
	v_add_f64 v[34:35], v[130:131], -v[2:3]
	v_add_f64 v[137:138], v[133:134], -v[4:5]
	;; [unrolled: 1-line block ×5, first 2 shown]
	v_fma_f64 v[128:129], v[128:129], 2.0, -v[32:33]
	v_add_f64 v[153:154], v[149:150], -v[12:13]
	v_add_f64 v[155:156], v[151:152], -v[14:15]
	v_fma_f64 v[130:131], v[130:131], 2.0, -v[34:35]
	v_fma_f64 v[133:134], v[133:134], 2.0, -v[137:138]
	;; [unrolled: 1-line block ×5, first 2 shown]
	s_waitcnt vmcnt(0)
	ds_write_b128 v0, v[32:35] offset:32
	ds_write_b128 v0, v[128:131]
	buffer_load_dword v0, off, s[48:51], 0 offset:88 ; 4-byte Folded Reload
	v_fma_f64 v[149:150], v[149:150], 2.0, -v[153:154]
	v_fma_f64 v[151:152], v[151:152], 2.0, -v[155:156]
	s_waitcnt vmcnt(0)
	ds_write_b128 v0, v[133:136]
	ds_write_b128 v0, v[137:140] offset:32
	buffer_load_dword v0, off, s[48:51], 0 offset:92 ; 4-byte Folded Reload
	s_waitcnt vmcnt(0)
	ds_write_b128 v0, v[145:148]
	ds_write_b128 v0, v[141:144] offset:32
	buffer_load_dword v0, off, s[48:51], 0 offset:96 ; 4-byte Folded Reload
	s_waitcnt vmcnt(0)
	ds_write_b128 v0, v[149:152]
	ds_write_b128 v0, v[153:156] offset:32
	s_waitcnt lgkmcnt(0)
	s_barrier
	ds_read_b128 v[32:35], v255
	ds_read_b128 v[128:131], v255 offset:2816
	ds_read_b128 v[133:136], v255 offset:11264
	ds_read_b128 v[137:140], v255 offset:14080
	ds_read_b128 v[141:144], v255 offset:5632
	ds_read_b128 v[145:148], v255 offset:8448
	ds_read_b128 v[149:152], v255 offset:16896
	ds_read_b128 v[153:156], v255 offset:19712
	s_waitcnt lgkmcnt(5)
	v_mul_f64 v[0:1], v[38:39], v[135:136]
	v_mul_f64 v[2:3], v[38:39], v[133:134]
	s_waitcnt lgkmcnt(4)
	v_mul_f64 v[4:5], v[38:39], v[139:140]
	v_mul_f64 v[6:7], v[38:39], v[137:138]
	;; [unrolled: 3-line block ×4, first 2 shown]
	v_fma_f64 v[0:1], v[36:37], v[133:134], v[0:1]
	v_fma_f64 v[2:3], v[36:37], v[135:136], -v[2:3]
	v_fma_f64 v[4:5], v[36:37], v[137:138], v[4:5]
	v_fma_f64 v[6:7], v[36:37], v[139:140], -v[6:7]
	;; [unrolled: 2-line block ×4, first 2 shown]
	v_add_f64 v[36:37], v[32:33], -v[0:1]
	s_barrier
	buffer_load_dword v0, off, s[48:51], 0 offset:112 ; 4-byte Folded Reload
	v_add_f64 v[38:39], v[34:35], -v[2:3]
	v_add_f64 v[133:134], v[128:129], -v[4:5]
	;; [unrolled: 1-line block ×3, first 2 shown]
	v_fma_f64 v[32:33], v[32:33], 2.0, -v[36:37]
	v_add_f64 v[137:138], v[141:142], -v[8:9]
	v_add_f64 v[139:140], v[143:144], -v[10:11]
	;; [unrolled: 1-line block ×4, first 2 shown]
	v_fma_f64 v[34:35], v[34:35], 2.0, -v[38:39]
	v_fma_f64 v[128:129], v[128:129], 2.0, -v[133:134]
	;; [unrolled: 1-line block ×3, first 2 shown]
	s_waitcnt vmcnt(0)
	ds_write_b128 v0, v[32:35]
	ds_write_b128 v0, v[36:39] offset:64
	buffer_load_dword v0, off, s[48:51], 0 offset:108 ; 4-byte Folded Reload
	v_fma_f64 v[141:142], v[141:142], 2.0, -v[137:138]
	v_fma_f64 v[143:144], v[143:144], 2.0, -v[139:140]
	;; [unrolled: 1-line block ×4, first 2 shown]
	s_waitcnt vmcnt(0)
	ds_write_b128 v0, v[128:131]
	ds_write_b128 v0, v[133:136] offset:64
	buffer_load_dword v0, off, s[48:51], 0 offset:104 ; 4-byte Folded Reload
	s_waitcnt vmcnt(0)
	ds_write_b128 v0, v[141:144]
	ds_write_b128 v0, v[137:140] offset:64
	buffer_load_dword v0, off, s[48:51], 0 offset:100 ; 4-byte Folded Reload
	s_waitcnt vmcnt(0)
	ds_write_b128 v0, v[145:148]
	ds_write_b128 v0, v[149:152] offset:64
	s_waitcnt lgkmcnt(0)
	s_barrier
	ds_read_b128 v[32:35], v255
	ds_read_b128 v[36:39], v255 offset:2816
	ds_read_b128 v[128:131], v255 offset:11264
	;; [unrolled: 1-line block ×7, first 2 shown]
	s_waitcnt lgkmcnt(5)
	v_mul_f64 v[0:1], v[42:43], v[130:131]
	v_mul_f64 v[2:3], v[42:43], v[128:129]
	s_waitcnt lgkmcnt(4)
	v_mul_f64 v[4:5], v[42:43], v[135:136]
	v_mul_f64 v[6:7], v[42:43], v[133:134]
	;; [unrolled: 3-line block ×4, first 2 shown]
	v_fma_f64 v[0:1], v[40:41], v[128:129], v[0:1]
	v_fma_f64 v[2:3], v[40:41], v[130:131], -v[2:3]
	v_fma_f64 v[4:5], v[40:41], v[133:134], v[4:5]
	v_fma_f64 v[6:7], v[40:41], v[135:136], -v[6:7]
	;; [unrolled: 2-line block ×4, first 2 shown]
	v_add_f64 v[40:41], v[32:33], -v[0:1]
	s_barrier
	buffer_load_dword v0, off, s[48:51], 0 offset:128 ; 4-byte Folded Reload
	v_add_f64 v[42:43], v[34:35], -v[2:3]
	v_add_f64 v[128:129], v[36:37], -v[4:5]
	;; [unrolled: 1-line block ×3, first 2 shown]
	v_fma_f64 v[32:33], v[32:33], 2.0, -v[40:41]
	v_add_f64 v[133:134], v[137:138], -v[8:9]
	v_add_f64 v[135:136], v[139:140], -v[10:11]
	;; [unrolled: 1-line block ×4, first 2 shown]
	v_fma_f64 v[34:35], v[34:35], 2.0, -v[42:43]
	v_fma_f64 v[36:37], v[36:37], 2.0, -v[128:129]
	v_fma_f64 v[38:39], v[38:39], 2.0, -v[130:131]
	s_waitcnt vmcnt(0)
	ds_write_b128 v0, v[32:35]
	ds_write_b128 v0, v[40:43] offset:128
	buffer_load_dword v0, off, s[48:51], 0 offset:124 ; 4-byte Folded Reload
	v_fma_f64 v[137:138], v[137:138], 2.0, -v[133:134]
	v_fma_f64 v[139:140], v[139:140], 2.0, -v[135:136]
	;; [unrolled: 1-line block ×4, first 2 shown]
	s_waitcnt vmcnt(0)
	ds_write_b128 v0, v[36:39]
	ds_write_b128 v0, v[128:131] offset:128
	buffer_load_dword v0, off, s[48:51], 0 offset:120 ; 4-byte Folded Reload
	s_waitcnt vmcnt(0)
	ds_write_b128 v0, v[137:140]
	ds_write_b128 v0, v[133:136] offset:128
	buffer_load_dword v0, off, s[48:51], 0 offset:116 ; 4-byte Folded Reload
	s_waitcnt vmcnt(0)
	ds_write_b128 v0, v[141:144]
	ds_write_b128 v0, v[145:148] offset:128
	s_waitcnt lgkmcnt(0)
	s_barrier
	ds_read_b128 v[32:35], v255
	ds_read_b128 v[36:39], v255 offset:2816
	ds_read_b128 v[40:43], v255 offset:11264
	;; [unrolled: 1-line block ×7, first 2 shown]
	s_waitcnt lgkmcnt(5)
	v_mul_f64 v[0:1], v[46:47], v[42:43]
	v_mul_f64 v[2:3], v[46:47], v[40:41]
	s_waitcnt lgkmcnt(0)
	s_barrier
	v_mul_f64 v[4:5], v[46:47], v[130:131]
	v_mul_f64 v[6:7], v[46:47], v[128:129]
	;; [unrolled: 1-line block ×3, first 2 shown]
	v_fma_f64 v[0:1], v[44:45], v[40:41], v[0:1]
	v_fma_f64 v[2:3], v[44:45], v[42:43], -v[2:3]
	v_mul_f64 v[10:11], v[46:47], v[141:142]
	v_mul_f64 v[12:13], v[46:47], v[147:148]
	;; [unrolled: 1-line block ×3, first 2 shown]
	v_fma_f64 v[4:5], v[44:45], v[128:129], v[4:5]
	v_fma_f64 v[6:7], v[44:45], v[130:131], -v[6:7]
	v_fma_f64 v[8:9], v[44:45], v[141:142], v[8:9]
	v_add_f64 v[40:41], v[32:33], -v[0:1]
	buffer_load_dword v0, off, s[48:51], 0 offset:144 ; 4-byte Folded Reload
	v_add_f64 v[42:43], v[34:35], -v[2:3]
	v_fma_f64 v[10:11], v[44:45], v[143:144], -v[10:11]
	v_fma_f64 v[12:13], v[44:45], v[145:146], v[12:13]
	v_fma_f64 v[14:15], v[44:45], v[147:148], -v[14:15]
	v_add_f64 v[44:45], v[36:37], -v[4:5]
	v_add_f64 v[46:47], v[38:39], -v[6:7]
	v_fma_f64 v[32:33], v[32:33], 2.0, -v[40:41]
	v_add_f64 v[128:129], v[133:134], -v[8:9]
	v_fma_f64 v[34:35], v[34:35], 2.0, -v[42:43]
	s_waitcnt vmcnt(0)
	ds_write_b128 v0, v[32:35]
	ds_write_b128 v0, v[40:43] offset:256
	buffer_load_dword v0, off, s[48:51], 0 offset:140 ; 4-byte Folded Reload
	v_fma_f64 v[36:37], v[36:37], 2.0, -v[44:45]
	v_fma_f64 v[38:39], v[38:39], 2.0, -v[46:47]
	v_add_f64 v[130:131], v[135:136], -v[10:11]
	v_fma_f64 v[133:134], v[133:134], 2.0, -v[128:129]
	v_add_f64 v[141:142], v[137:138], -v[12:13]
	v_add_f64 v[143:144], v[139:140], -v[14:15]
	s_waitcnt vmcnt(0)
	ds_write_b128 v0, v[36:39]
	ds_write_b128 v0, v[44:47] offset:256
	buffer_load_dword v0, off, s[48:51], 0 offset:136 ; 4-byte Folded Reload
	v_fma_f64 v[135:136], v[135:136], 2.0, -v[130:131]
	v_fma_f64 v[137:138], v[137:138], 2.0, -v[141:142]
	;; [unrolled: 1-line block ×3, first 2 shown]
	s_waitcnt vmcnt(0)
	ds_write_b128 v0, v[133:136]
	ds_write_b128 v0, v[128:131] offset:256
	buffer_load_dword v0, off, s[48:51], 0 offset:132 ; 4-byte Folded Reload
	s_waitcnt vmcnt(0)
	ds_write_b128 v0, v[137:140]
	ds_write_b128 v0, v[141:144] offset:256
	s_waitcnt lgkmcnt(0)
	s_barrier
	ds_read_b128 v[32:35], v255
	ds_read_b128 v[40:43], v255 offset:2816
	ds_read_b128 v[36:39], v255 offset:11264
	;; [unrolled: 1-line block ×7, first 2 shown]
	s_waitcnt lgkmcnt(5)
	v_mul_f64 v[0:1], v[54:55], v[38:39]
	v_mul_f64 v[2:3], v[54:55], v[36:37]
	s_waitcnt lgkmcnt(0)
	s_barrier
	v_mul_f64 v[4:5], v[58:59], v[46:47]
	v_mul_f64 v[6:7], v[58:59], v[44:45]
	;; [unrolled: 1-line block ×3, first 2 shown]
	v_fma_f64 v[0:1], v[52:53], v[36:37], v[0:1]
	v_fma_f64 v[2:3], v[52:53], v[38:39], -v[2:3]
	v_mul_f64 v[10:11], v[54:55], v[137:138]
	v_mul_f64 v[12:13], v[26:27], v[143:144]
	;; [unrolled: 1-line block ×3, first 2 shown]
	v_fma_f64 v[4:5], v[24:25], v[44:45], v[4:5]
	v_fma_f64 v[6:7], v[24:25], v[46:47], -v[6:7]
	v_fma_f64 v[8:9], v[52:53], v[137:138], v[8:9]
	v_add_f64 v[36:37], v[32:33], -v[0:1]
	buffer_load_dword v0, off, s[48:51], 0 offset:160 ; 4-byte Folded Reload
	v_add_f64 v[38:39], v[34:35], -v[2:3]
	v_fma_f64 v[10:11], v[52:53], v[139:140], -v[10:11]
	v_fma_f64 v[12:13], v[56:57], v[141:142], v[12:13]
	v_add_f64 v[44:45], v[40:41], -v[4:5]
	v_add_f64 v[46:47], v[42:43], -v[6:7]
	;; [unrolled: 1-line block ×3, first 2 shown]
	v_fma_f64 v[32:33], v[32:33], 2.0, -v[36:37]
	v_fma_f64 v[14:15], v[56:57], v[143:144], -v[14:15]
	v_fma_f64 v[34:35], v[34:35], 2.0, -v[38:39]
	s_waitcnt vmcnt(0)
	ds_write_b128 v0, v[32:35]
	ds_write_b128 v0, v[36:39] offset:512
	buffer_load_dword v0, off, s[48:51], 0 offset:156 ; 4-byte Folded Reload
	v_fma_f64 v[40:41], v[40:41], 2.0, -v[44:45]
	v_fma_f64 v[42:43], v[42:43], 2.0, -v[46:47]
	s_waitcnt vmcnt(0)
	ds_write_b128 v0, v[40:43]
	ds_write_b128 v0, v[44:47] offset:512
	buffer_load_dword v0, off, s[48:51], 0 offset:152 ; 4-byte Folded Reload
	v_add_f64 v[54:55], v[130:131], -v[10:11]
	v_fma_f64 v[56:57], v[128:129], 2.0, -v[52:53]
	v_add_f64 v[124:125], v[133:134], -v[12:13]
	v_add_f64 v[126:127], v[135:136], -v[14:15]
	v_fma_f64 v[58:59], v[130:131], 2.0, -v[54:55]
	s_waitcnt vmcnt(0)
	ds_write_b128 v0, v[56:59]
	ds_write_b128 v0, v[52:55] offset:512
	buffer_load_dword v0, off, s[48:51], 0 offset:148 ; 4-byte Folded Reload
	v_fma_f64 v[128:129], v[133:134], 2.0, -v[124:125]
	v_fma_f64 v[130:131], v[135:136], 2.0, -v[126:127]
	s_waitcnt vmcnt(0)
	ds_write_b128 v0, v[128:131]
	ds_write_b128 v0, v[124:127] offset:512
	s_waitcnt lgkmcnt(0)
	s_barrier
	s_and_saveexec_b64 s[2:3], s[0:1]
	s_cbranch_execz .LBB0_7
; %bb.6:
	ds_read_b128 v[32:35], v255
	ds_read_b128 v[36:39], v255 offset:2048
	ds_read_b128 v[40:43], v255 offset:4096
	;; [unrolled: 1-line block ×10, first 2 shown]
.LBB0_7:
	s_or_b64 exec, exec, s[2:3]
	s_waitcnt lgkmcnt(0)
	s_barrier
	s_and_saveexec_b64 s[2:3], s[0:1]
	s_cbranch_execz .LBB0_9
; %bb.8:
	v_mul_f64 v[0:1], v[90:91], v[54:55]
	v_mul_f64 v[2:3], v[82:83], v[130:131]
	;; [unrolled: 1-line block ×8, first 2 shown]
	v_fma_f64 v[70:71], v[88:89], v[52:53], v[0:1]
	v_fma_f64 v[52:53], v[80:81], v[128:129], v[2:3]
	v_mul_f64 v[0:1], v[78:79], v[124:125]
	v_mul_f64 v[2:3], v[66:67], v[46:47]
	v_fma_f64 v[82:83], v[88:89], v[54:55], -v[4:5]
	v_fma_f64 v[88:89], v[68:69], v[56:57], v[8:9]
	v_fma_f64 v[56:57], v[76:77], v[124:125], v[10:11]
	v_fma_f64 v[78:79], v[80:81], v[130:131], -v[6:7]
	v_fma_f64 v[80:81], v[68:69], v[58:59], -v[12:13]
	v_mul_f64 v[4:5], v[74:75], v[120:121]
	v_fma_f64 v[68:69], v[76:77], v[126:127], -v[0:1]
	v_fma_f64 v[76:77], v[64:65], v[44:45], v[2:3]
	v_mul_f64 v[2:3], v[66:67], v[44:45]
	v_fma_f64 v[58:59], v[72:73], v[120:121], v[14:15]
	v_mul_f64 v[10:11], v[62:63], v[38:39]
	v_mul_f64 v[12:13], v[86:87], v[114:115]
	;; [unrolled: 1-line block ×3, first 2 shown]
	s_mov_b32 s20, 0xfd768dbf
	s_mov_b32 s21, 0xbfd207e7
	s_mov_b32 s26, 0xf8bb580b
	v_fma_f64 v[66:67], v[64:65], v[46:47], -v[2:3]
	v_fma_f64 v[46:47], v[72:73], v[122:123], -v[4:5]
	v_mul_f64 v[2:3], v[50:51], v[42:43]
	v_mul_f64 v[4:5], v[94:95], v[118:119]
	v_fma_f64 v[50:51], v[60:61], v[36:37], v[10:11]
	v_mul_f64 v[10:11], v[94:95], v[116:117]
	v_fma_f64 v[14:15], v[48:49], v[42:43], -v[14:15]
	s_mov_b32 s18, 0x9bcd5057
	s_mov_b32 s27, 0x3fe14ced
	;; [unrolled: 1-line block ×3, first 2 shown]
	v_fma_f64 v[120:121], v[48:49], v[40:41], v[2:3]
	v_fma_f64 v[64:65], v[92:93], v[116:117], v[4:5]
	v_mul_f64 v[2:3], v[62:63], v[36:37]
	v_mul_f64 v[4:5], v[86:87], v[112:113]
	v_fma_f64 v[36:37], v[84:85], v[112:113], v[12:13]
	v_fma_f64 v[40:41], v[92:93], v[118:119], -v[10:11]
	v_add_f64 v[141:142], v[66:67], -v[46:47]
	s_mov_b32 s14, 0xbb3a28a1
	s_mov_b32 s22, 0x8764f0ba
	v_add_f64 v[12:13], v[120:121], -v[64:65]
	v_fma_f64 v[2:3], v[60:61], v[38:39], -v[2:3]
	v_fma_f64 v[38:39], v[84:85], v[114:115], -v[4:5]
	v_add_f64 v[122:123], v[50:51], -v[36:37]
	v_add_f64 v[137:138], v[14:15], -v[40:41]
	v_add_f64 v[139:140], v[50:51], v[36:37]
	v_add_f64 v[130:131], v[14:15], v[40:41]
	;; [unrolled: 1-line block ×3, first 2 shown]
	v_mul_f64 v[60:61], v[12:13], s[26:27]
	s_mov_b32 s15, 0xbfe82f19
	v_add_f64 v[10:11], v[2:3], -v[38:39]
	v_mul_f64 v[42:43], v[122:123], s[20:21]
	v_add_f64 v[48:49], v[2:3], v[38:39]
	v_mul_f64 v[86:87], v[137:138], s[26:27]
	s_mov_b32 s23, 0x3feaeb8c
	v_add_f64 v[74:75], v[76:77], -v[58:59]
	v_fma_f64 v[94:95], v[130:131], s[22:23], v[60:61]
	v_add_f64 v[145:146], v[80:81], -v[68:69]
	v_mul_f64 v[62:63], v[10:11], s[20:21]
	v_add_f64 v[147:148], v[76:77], v[58:59]
	v_fma_f64 v[84:85], v[48:49], s[18:19], v[42:43]
	v_fma_f64 v[42:43], v[48:49], s[18:19], -v[42:43]
	v_mul_f64 v[112:113], v[141:142], s[14:15]
	v_fma_f64 v[114:115], v[143:144], s[22:23], -v[86:87]
	s_mov_b32 s16, 0x7f775887
	s_mov_b32 s7, 0x3fed1bb4
	v_fma_f64 v[92:93], v[139:140], s[18:19], -v[62:63]
	s_mov_b32 s6, 0x8eee2c13
	v_add_f64 v[84:85], v[34:35], v[84:85]
	s_mov_b32 s17, 0xbfe4f49e
	v_add_f64 v[124:125], v[88:89], -v[56:57]
	v_mul_f64 v[8:9], v[74:75], s[14:15]
	v_add_f64 v[72:73], v[66:67], v[46:47]
	v_fma_f64 v[60:61], v[130:131], s[22:23], -v[60:61]
	v_add_f64 v[92:93], v[32:33], v[92:93]
	v_add_f64 v[42:43], v[34:35], v[42:43]
	;; [unrolled: 1-line block ×4, first 2 shown]
	v_mul_f64 v[94:95], v[145:146], s[6:7]
	v_fma_f64 v[116:117], v[147:148], s[16:17], -v[112:113]
	s_mov_b32 s12, 0xd9c712b6
	s_mov_b32 s13, 0x3fda9628
	v_add_f64 v[92:93], v[114:115], v[92:93]
	v_mul_f64 v[6:7], v[124:125], s[6:7]
	v_add_f64 v[44:45], v[80:81], v[68:69]
	v_fma_f64 v[4:5], v[72:73], s[16:17], v[8:9]
	v_fma_f64 v[8:9], v[72:73], s[16:17], -v[8:9]
	v_add_f64 v[42:43], v[60:61], v[42:43]
	v_fma_f64 v[114:115], v[151:152], s[12:13], -v[94:95]
	v_fma_f64 v[62:63], v[139:140], s[18:19], v[62:63]
	v_add_f64 v[92:93], v[116:117], v[92:93]
	s_mov_b32 s0, 0x43842ef
	v_fma_f64 v[60:61], v[44:45], s[12:13], v[6:7]
	v_fma_f64 v[6:7], v[44:45], s[12:13], -v[6:7]
	s_mov_b32 s1, 0xbfefac9e
	v_add_f64 v[8:9], v[8:9], v[42:43]
	s_mov_b32 s31, 0x3fefac9e
	s_mov_b32 s30, s0
	v_add_f64 v[92:93], v[114:115], v[92:93]
	v_mul_f64 v[114:115], v[10:11], s[14:15]
	v_fma_f64 v[86:87], v[143:144], s[22:23], v[86:87]
	v_add_f64 v[62:63], v[32:33], v[62:63]
	v_mul_f64 v[126:127], v[137:138], s[30:31]
	v_add_f64 v[6:7], v[6:7], v[8:9]
	v_mul_f64 v[8:9], v[122:123], s[14:15]
	s_mov_b32 s24, 0x640f44db
	s_mov_b32 s25, 0xbfc2375f
	v_fma_f64 v[128:129], v[139:140], s[16:17], -v[114:115]
	s_mov_b32 s29, 0xbfe14ced
	s_mov_b32 s28, s26
	v_add_f64 v[90:91], v[70:71], -v[52:53]
	v_fma_f64 v[112:113], v[147:148], s[16:17], v[112:113]
	v_mul_f64 v[116:117], v[12:13], s[30:31]
	v_fma_f64 v[118:119], v[48:49], s[16:17], v[8:9]
	v_mul_f64 v[155:156], v[141:142], s[28:29]
	v_fma_f64 v[157:158], v[143:144], s[24:25], -v[126:127]
	v_add_f64 v[128:129], v[32:33], v[128:129]
	v_add_f64 v[62:63], v[86:87], v[62:63]
	v_mul_f64 v[0:1], v[90:91], s[0:1]
	v_add_f64 v[54:55], v[82:83], v[78:79]
	v_add_f64 v[4:5], v[4:5], v[84:85]
	v_mul_f64 v[133:134], v[74:75], s[28:29]
	v_fma_f64 v[135:136], v[130:131], s[24:25], v[116:117]
	v_add_f64 v[118:119], v[34:35], v[118:119]
	v_fma_f64 v[86:87], v[151:152], s[12:13], v[94:95]
	v_fma_f64 v[161:162], v[147:148], s[22:23], -v[155:156]
	v_add_f64 v[128:129], v[157:158], v[128:129]
	v_add_f64 v[62:63], v[112:113], v[62:63]
	v_fma_f64 v[8:9], v[48:49], s[16:17], -v[8:9]
	v_add_f64 v[149:150], v[82:83], -v[78:79]
	v_fma_f64 v[42:43], v[54:55], s[24:25], v[0:1]
	v_add_f64 v[4:5], v[60:61], v[4:5]
	v_fma_f64 v[0:1], v[54:55], s[24:25], -v[0:1]
	v_mul_f64 v[159:160], v[124:125], s[20:21]
	v_fma_f64 v[94:95], v[72:73], s[22:23], v[133:134]
	v_add_f64 v[118:119], v[135:136], v[118:119]
	v_mul_f64 v[135:136], v[145:146], s[20:21]
	v_add_f64 v[128:129], v[161:162], v[128:129]
	v_add_f64 v[161:162], v[86:87], v[62:63]
	v_fma_f64 v[86:87], v[130:131], s[24:25], -v[116:117]
	v_add_f64 v[8:9], v[34:35], v[8:9]
	v_add_f64 v[153:154], v[70:71], v[52:53]
	v_mul_f64 v[84:85], v[149:150], s[0:1]
	v_mul_f64 v[112:113], v[90:91], s[6:7]
	v_fma_f64 v[157:158], v[44:45], s[18:19], v[159:160]
	v_add_f64 v[94:95], v[94:95], v[118:119]
	v_mul_f64 v[118:119], v[149:150], s[6:7]
	v_fma_f64 v[163:164], v[151:152], s[18:19], -v[135:136]
	v_add_f64 v[62:63], v[42:43], v[4:5]
	v_fma_f64 v[4:5], v[72:73], s[22:23], -v[133:134]
	v_add_f64 v[8:9], v[86:87], v[8:9]
	v_add_f64 v[86:87], v[0:1], v[6:7]
	v_fma_f64 v[6:7], v[139:140], s[16:17], v[114:115]
	v_fma_f64 v[60:61], v[153:154], s[24:25], -v[84:85]
	v_fma_f64 v[116:117], v[54:55], s[12:13], v[112:113]
	v_add_f64 v[94:95], v[157:158], v[94:95]
	v_fma_f64 v[157:158], v[153:154], s[12:13], -v[118:119]
	v_add_f64 v[128:129], v[163:164], v[128:129]
	v_mul_f64 v[0:1], v[122:123], s[0:1]
	v_fma_f64 v[42:43], v[44:45], s[18:19], -v[159:160]
	v_add_f64 v[4:5], v[4:5], v[8:9]
	v_fma_f64 v[8:9], v[143:144], s[24:25], v[126:127]
	v_add_f64 v[6:7], v[32:33], v[6:7]
	s_mov_b32 s35, 0x3fd207e7
	s_mov_b32 s34, s20
	v_add_f64 v[60:61], v[60:61], v[92:93]
	v_add_f64 v[94:95], v[116:117], v[94:95]
	v_add_f64 v[92:93], v[157:158], v[128:129]
	v_mul_f64 v[114:115], v[12:13], s[34:35]
	v_fma_f64 v[116:117], v[48:49], s[24:25], v[0:1]
	v_add_f64 v[4:5], v[42:43], v[4:5]
	v_fma_f64 v[42:43], v[147:148], s[22:23], v[155:156]
	v_mul_f64 v[128:129], v[10:11], s[0:1]
	v_add_f64 v[6:7], v[8:9], v[6:7]
	v_fma_f64 v[84:85], v[153:154], s[24:25], v[84:85]
	v_mul_f64 v[126:127], v[74:75], s[6:7]
	v_fma_f64 v[133:134], v[130:131], s[18:19], v[114:115]
	v_add_f64 v[116:117], v[34:35], v[116:117]
	v_fma_f64 v[8:9], v[153:154], s[12:13], v[118:119]
	v_fma_f64 v[118:119], v[151:152], s[18:19], v[135:136]
	v_mul_f64 v[155:156], v[137:138], s[34:35]
	v_fma_f64 v[157:158], v[139:140], s[24:25], -v[128:129]
	v_add_f64 v[6:7], v[42:43], v[6:7]
	v_fma_f64 v[0:1], v[48:49], s[24:25], -v[0:1]
	v_add_f64 v[84:85], v[84:85], v[161:162]
	v_mul_f64 v[135:136], v[124:125], s[28:29]
	v_fma_f64 v[159:160], v[72:73], s[12:13], v[126:127]
	v_add_f64 v[116:117], v[133:134], v[116:117]
	v_mul_f64 v[133:134], v[141:142], s[6:7]
	v_fma_f64 v[161:162], v[143:144], s[18:19], -v[155:156]
	v_add_f64 v[157:158], v[32:33], v[157:158]
	v_add_f64 v[6:7], v[118:119], v[6:7]
	v_fma_f64 v[118:119], v[130:131], s[18:19], -v[114:115]
	v_add_f64 v[0:1], v[34:35], v[0:1]
	v_fma_f64 v[112:113], v[54:55], s[12:13], -v[112:113]
	v_mul_f64 v[42:43], v[90:91], s[14:15]
	v_fma_f64 v[163:164], v[44:45], s[22:23], v[135:136]
	v_add_f64 v[116:117], v[159:160], v[116:117]
	v_mul_f64 v[159:160], v[145:146], s[28:29]
	v_fma_f64 v[165:166], v[147:148], s[12:13], -v[133:134]
	v_add_f64 v[157:158], v[161:162], v[157:158]
	v_fma_f64 v[126:127], v[72:73], s[12:13], -v[126:127]
	v_add_f64 v[0:1], v[118:119], v[0:1]
	s_mov_b32 s7, 0xbfed1bb4
	v_fma_f64 v[161:162], v[54:55], s[16:17], v[42:43]
	v_add_f64 v[116:117], v[163:164], v[116:117]
	v_add_f64 v[114:115], v[112:113], v[4:5]
	v_fma_f64 v[163:164], v[151:152], s[22:23], -v[159:160]
	v_add_f64 v[157:158], v[165:166], v[157:158]
	v_add_f64 v[112:113], v[8:9], v[6:7]
	v_fma_f64 v[6:7], v[44:45], s[22:23], -v[135:136]
	v_mul_f64 v[8:9], v[122:123], s[6:7]
	v_add_f64 v[0:1], v[126:127], v[0:1]
	v_fma_f64 v[128:129], v[139:140], s[24:25], v[128:129]
	v_add_f64 v[118:119], v[161:162], v[116:117]
	v_add_f64 v[2:3], v[34:35], v[2:3]
	;; [unrolled: 1-line block ×3, first 2 shown]
	v_mul_f64 v[157:158], v[12:13], s[14:15]
	v_add_f64 v[50:51], v[32:33], v[50:51]
	v_fma_f64 v[161:162], v[48:49], s[12:13], v[8:9]
	v_add_f64 v[0:1], v[6:7], v[0:1]
	v_fma_f64 v[6:7], v[143:144], s[18:19], v[155:156]
	v_add_f64 v[128:129], v[32:33], v[128:129]
	v_mul_f64 v[165:166], v[74:75], s[34:35]
	v_fma_f64 v[133:134], v[147:148], s[12:13], v[133:134]
	v_fma_f64 v[167:168], v[130:131], s[16:17], v[157:158]
	v_add_f64 v[2:3], v[2:3], v[14:15]
	v_add_f64 v[161:162], v[34:35], v[161:162]
	;; [unrolled: 1-line block ×3, first 2 shown]
	v_mul_f64 v[4:5], v[149:150], s[14:15]
	v_add_f64 v[6:7], v[6:7], v[128:129]
	v_mul_f64 v[173:174], v[124:125], s[30:31]
	v_fma_f64 v[128:129], v[72:73], s[18:19], v[165:166]
	v_fma_f64 v[159:160], v[151:152], s[22:23], v[159:160]
	v_fma_f64 v[8:9], v[48:49], s[12:13], -v[8:9]
	v_add_f64 v[161:162], v[167:168], v[161:162]
	v_add_f64 v[2:3], v[2:3], v[66:67]
	;; [unrolled: 1-line block ×4, first 2 shown]
	v_fma_f64 v[116:117], v[153:154], s[16:17], -v[4:5]
	v_mul_f64 v[135:136], v[10:11], s[6:7]
	v_fma_f64 v[42:43], v[54:55], s[16:17], -v[42:43]
	v_fma_f64 v[133:134], v[44:45], s[24:25], v[173:174]
	v_add_f64 v[128:129], v[128:129], v[161:162]
	v_fma_f64 v[4:5], v[153:154], s[16:17], v[4:5]
	v_fma_f64 v[157:158], v[130:131], s[16:17], -v[157:158]
	v_add_f64 v[6:7], v[159:160], v[6:7]
	v_add_f64 v[8:9], v[34:35], v[8:9]
	;; [unrolled: 1-line block ×4, first 2 shown]
	v_mul_f64 v[155:156], v[137:138], s[14:15]
	v_add_f64 v[133:134], v[133:134], v[128:129]
	v_add_f64 v[116:117], v[116:117], v[126:127]
	;; [unrolled: 1-line block ×3, first 2 shown]
	v_fma_f64 v[0:1], v[72:73], s[18:19], -v[165:166]
	v_fma_f64 v[42:43], v[139:140], s[12:13], v[135:136]
	v_add_f64 v[8:9], v[157:158], v[8:9]
	v_add_f64 v[126:127], v[4:5], v[6:7]
	v_mul_f64 v[6:7], v[122:123], s[28:29]
	v_mul_f64 v[10:11], v[10:11], s[28:29]
	v_add_f64 v[2:3], v[2:3], v[82:83]
	v_add_f64 v[14:15], v[14:15], v[70:71]
	v_mul_f64 v[169:170], v[141:142], s[34:35]
	v_fma_f64 v[171:172], v[143:144], s[16:17], -v[155:156]
	v_fma_f64 v[4:5], v[44:45], s[24:25], -v[173:174]
	v_fma_f64 v[122:123], v[143:144], s[16:17], v[155:156]
	v_add_f64 v[42:43], v[32:33], v[42:43]
	v_add_f64 v[0:1], v[0:1], v[8:9]
	v_mul_f64 v[12:13], v[12:13], s[6:7]
	v_fma_f64 v[155:156], v[48:49], s[22:23], v[6:7]
	v_fma_f64 v[6:7], v[48:49], s[22:23], -v[6:7]
	v_mul_f64 v[48:49], v[137:138], s[6:7]
	v_fma_f64 v[70:71], v[139:140], s[22:23], v[10:11]
	v_fma_f64 v[163:164], v[139:140], s[12:13], -v[135:136]
	v_fma_f64 v[10:11], v[139:140], s[22:23], -v[10:11]
	v_add_f64 v[2:3], v[2:3], v[78:79]
	v_add_f64 v[14:15], v[14:15], v[52:53]
	v_mul_f64 v[167:168], v[145:146], s[30:31]
	v_fma_f64 v[157:158], v[147:148], s[18:19], v[169:170]
	v_add_f64 v[42:43], v[122:123], v[42:43]
	v_add_f64 v[0:1], v[4:5], v[0:1]
	v_mul_f64 v[4:5], v[74:75], s[0:1]
	v_fma_f64 v[50:51], v[130:131], s[12:13], v[12:13]
	v_add_f64 v[74:75], v[34:35], v[155:156]
	v_mul_f64 v[82:83], v[141:142], s[0:1]
	v_fma_f64 v[12:13], v[130:131], s[12:13], -v[12:13]
	v_add_f64 v[6:7], v[34:35], v[6:7]
	v_fma_f64 v[34:35], v[143:144], s[12:13], v[48:49]
	v_add_f64 v[52:53], v[32:33], v[70:71]
	v_add_f64 v[163:164], v[32:33], v[163:164]
	v_fma_f64 v[48:49], v[143:144], s[12:13], -v[48:49]
	v_add_f64 v[10:11], v[32:33], v[10:11]
	v_add_f64 v[2:3], v[2:3], v[68:69]
	;; [unrolled: 1-line block ×3, first 2 shown]
	v_fma_f64 v[120:121], v[151:152], s[24:25], v[167:168]
	v_add_f64 v[42:43], v[157:158], v[42:43]
	v_mul_f64 v[122:123], v[124:125], s[14:15]
	v_fma_f64 v[66:67], v[72:73], s[24:25], v[4:5]
	v_add_f64 v[50:51], v[50:51], v[74:75]
	v_mul_f64 v[80:81], v[145:146], s[14:15]
	v_fma_f64 v[4:5], v[72:73], s[24:25], -v[4:5]
	v_add_f64 v[6:7], v[12:13], v[6:7]
	v_fma_f64 v[12:13], v[147:148], s[24:25], v[82:83]
	v_add_f64 v[32:33], v[34:35], v[52:53]
	v_fma_f64 v[175:176], v[147:148], s[18:19], -v[169:170]
	v_add_f64 v[163:164], v[171:172], v[163:164]
	v_fma_f64 v[34:35], v[147:148], s[24:25], -v[82:83]
	v_add_f64 v[10:11], v[48:49], v[10:11]
	v_add_f64 v[2:3], v[2:3], v[46:47]
	v_add_f64 v[14:15], v[14:15], v[58:59]
	v_mul_f64 v[171:172], v[90:91], s[26:27]
	v_mul_f64 v[90:91], v[90:91], s[20:21]
	v_add_f64 v[76:77], v[120:121], v[42:43]
	v_fma_f64 v[42:43], v[44:45], s[16:17], v[122:123]
	v_add_f64 v[50:51], v[66:67], v[50:51]
	v_mul_f64 v[66:67], v[149:150], s[20:21]
	v_fma_f64 v[44:45], v[44:45], s[16:17], -v[122:123]
	v_add_f64 v[4:5], v[4:5], v[6:7]
	v_fma_f64 v[6:7], v[151:152], s[16:17], v[80:81]
	v_add_f64 v[12:13], v[12:13], v[32:33]
	v_mul_f64 v[161:162], v[149:150], s[26:27]
	v_fma_f64 v[177:178], v[151:152], s[24:25], -v[167:168]
	v_add_f64 v[163:164], v[175:176], v[163:164]
	v_fma_f64 v[32:33], v[151:152], s[16:17], -v[80:81]
	v_add_f64 v[10:11], v[34:35], v[10:11]
	v_add_f64 v[2:3], v[2:3], v[40:41]
	;; [unrolled: 1-line block ×3, first 2 shown]
	v_fma_f64 v[46:47], v[54:55], s[18:19], -v[90:91]
	v_add_f64 v[4:5], v[44:45], v[4:5]
	v_fma_f64 v[48:49], v[153:154], s[18:19], v[66:67]
	v_add_f64 v[6:7], v[6:7], v[12:13]
	v_fma_f64 v[8:9], v[54:55], s[22:23], -v[171:172]
	v_fma_f64 v[74:75], v[153:154], s[22:23], v[161:162]
	v_fma_f64 v[159:160], v[54:55], s[22:23], v[171:172]
	v_fma_f64 v[175:176], v[153:154], s[22:23], -v[161:162]
	v_add_f64 v[163:164], v[177:178], v[163:164]
	v_fma_f64 v[120:121], v[54:55], s[18:19], v[90:91]
	v_add_f64 v[12:13], v[42:43], v[50:51]
	v_fma_f64 v[50:51], v[153:154], s[18:19], -v[66:67]
	v_add_f64 v[10:11], v[32:33], v[10:11]
	v_add_f64 v[44:45], v[2:3], v[38:39]
	;; [unrolled: 1-line block ×7, first 2 shown]
	v_lshrrev_b32_e32 v0, 6, v132
	v_mul_u32_u24_e32 v0, 0x2c0, v0
	v_and_b32_e32 v1, 63, v132
	v_or_b32_e32 v0, v0, v1
	v_lshlrev_b32_e32 v0, 4, v0
	v_add_f64 v[135:136], v[159:160], v[133:134]
	v_add_f64 v[133:134], v[175:176], v[163:164]
	;; [unrolled: 1-line block ×4, first 2 shown]
	ds_write_b128 v0, v[42:45]
	ds_write_b128 v0, v[38:41] offset:1024
	ds_write_b128 v0, v[32:35] offset:2048
	;; [unrolled: 1-line block ×10, first 2 shown]
.LBB0_9:
	s_or_b64 exec, exec, s[2:3]
	s_waitcnt lgkmcnt(0)
	s_barrier
	ds_read_b128 v[32:35], v255
	ds_read_b128 v[36:39], v255 offset:2816
	ds_read_b128 v[40:43], v255 offset:11264
	;; [unrolled: 1-line block ×7, first 2 shown]
	s_waitcnt lgkmcnt(5)
	v_mul_f64 v[0:1], v[98:99], v[42:43]
	v_mul_f64 v[2:3], v[98:99], v[40:41]
	s_waitcnt lgkmcnt(4)
	v_mul_f64 v[4:5], v[102:103], v[46:47]
	v_mul_f64 v[6:7], v[102:103], v[44:45]
	s_waitcnt lgkmcnt(1)
	v_mul_f64 v[8:9], v[106:107], v[58:59]
	v_mul_f64 v[10:11], v[106:107], v[56:57]
	s_waitcnt lgkmcnt(0)
	v_mul_f64 v[12:13], v[110:111], v[62:63]
	v_mul_f64 v[14:15], v[110:111], v[60:61]
	v_fma_f64 v[0:1], v[96:97], v[40:41], v[0:1]
	v_fma_f64 v[2:3], v[96:97], v[42:43], -v[2:3]
	v_fma_f64 v[4:5], v[100:101], v[44:45], v[4:5]
	v_fma_f64 v[6:7], v[100:101], v[46:47], -v[6:7]
	v_fma_f64 v[8:9], v[104:105], v[56:57], v[8:9]
	v_fma_f64 v[10:11], v[104:105], v[58:59], -v[10:11]
	v_fma_f64 v[12:13], v[108:109], v[60:61], v[12:13]
	v_fma_f64 v[14:15], v[108:109], v[62:63], -v[14:15]
	v_add_f64 v[40:41], v[32:33], -v[0:1]
	buffer_load_dword v0, off, s[48:51], 0  ; 4-byte Folded Reload
	buffer_load_dword v1, off, s[48:51], 0 offset:4 ; 4-byte Folded Reload
	v_add_f64 v[42:43], v[34:35], -v[2:3]
	v_add_f64 v[44:45], v[36:37], -v[4:5]
	;; [unrolled: 1-line block ×7, first 2 shown]
	v_fma_f64 v[32:33], v[32:33], 2.0, -v[40:41]
	v_fma_f64 v[34:35], v[34:35], 2.0, -v[42:43]
	;; [unrolled: 1-line block ×8, first 2 shown]
	ds_write_b128 v255, v[32:35]
	ds_write_b128 v255, v[40:43] offset:11264
	ds_write_b128 v255, v[36:39] offset:2816
	ds_write_b128 v255, v[44:47] offset:14080
	ds_write_b128 v255, v[48:51] offset:5632
	ds_write_b128 v255, v[56:59] offset:16896
	ds_write_b128 v255, v[52:55] offset:8448
	ds_write_b128 v255, v[60:63] offset:19712
	s_waitcnt vmcnt(0) lgkmcnt(0)
	s_barrier
	ds_read_b128 v[32:35], v255
	ds_read_b128 v[36:39], v255 offset:2816
	v_mad_u64_u32 v[7:8], s[0:1], s8, v132, 0
	ds_read_b128 v[40:43], v255 offset:14080
	s_waitcnt lgkmcnt(2)
	v_mul_f64 v[2:3], v[30:31], v[34:35]
	v_mov_b32_e32 v4, v0
	v_mad_u64_u32 v[0:1], s[0:1], s10, v4, 0
	v_mad_u64_u32 v[4:5], s[0:1], s11, v4, v[1:2]
	v_mul_f64 v[5:6], v[30:31], v[32:33]
	v_fma_f64 v[2:3], v[28:29], v[32:33], v[2:3]
	v_mov_b32_e32 v1, v4
	s_mov_b32 s0, 0x745d1746
	s_mov_b32 s1, 0x3f4745d1
	v_lshlrev_b64 v[0:1], 4, v[0:1]
	v_fma_f64 v[4:5], v[28:29], v[34:35], -v[5:6]
	ds_read_b128 v[32:35], v255 offset:11264
	buffer_load_dword v11, off, s[48:51], 0 offset:8 ; 4-byte Folded Reload
	buffer_load_dword v12, off, s[48:51], 0 offset:12 ; 4-byte Folded Reload
	;; [unrolled: 1-line block ×4, first 2 shown]
	v_mov_b32_e32 v6, v8
	v_mul_f64 v[28:29], v[2:3], s[0:1]
	v_mad_u64_u32 v[8:9], s[2:3], s9, v132, v[6:7]
	v_mov_b32_e32 v6, s5
	v_mul_f64 v[30:31], v[4:5], s[0:1]
	v_add_co_u32_e32 v9, vcc, s4, v0
	v_addc_co_u32_e32 v10, vcc, v6, v1, vcc
	v_lshlrev_b64 v[0:1], 4, v[7:8]
	s_mul_i32 s2, s9, 0x2c00
	v_add_co_u32_e32 v6, vcc, v9, v0
	v_addc_co_u32_e32 v7, vcc, v10, v1, vcc
	s_waitcnt lgkmcnt(2)
	v_mul_f64 v[8:9], v[18:19], v[38:39]
	s_mul_hi_u32 s3, s8, 0x2c00
	s_add_i32 s2, s3, s2
	s_mul_i32 s3, s8, 0x2c00
	global_store_dwordx4 v[6:7], v[28:31], off
	v_add_co_u32_e32 v6, vcc, s3, v6
	s_mul_hi_u32 s5, s8, 0xffffdf00
	s_mul_i32 s4, s9, 0xffffdf00
	s_sub_i32 s5, s5, s8
	s_add_i32 s4, s5, s4
	s_mul_i32 s5, s8, 0xffffdf00
	v_mov_b32_e32 v15, s4
	s_waitcnt vmcnt(1) lgkmcnt(0)
	v_mul_f64 v[2:3], v[13:14], v[34:35]
	v_mul_f64 v[4:5], v[13:14], v[32:33]
	v_fma_f64 v[2:3], v[11:12], v[32:33], v[2:3]
	v_fma_f64 v[4:5], v[11:12], v[34:35], -v[4:5]
	v_mul_f64 v[10:11], v[18:19], v[36:37]
	v_mov_b32_e32 v32, s2
	v_mul_f64 v[0:1], v[2:3], s[0:1]
	v_mul_f64 v[2:3], v[4:5], s[0:1]
	v_fma_f64 v[4:5], v[16:17], v[36:37], v[8:9]
	v_fma_f64 v[8:9], v[16:17], v[38:39], -v[10:11]
	v_mov_b32_e32 v10, s2
	v_addc_co_u32_e32 v7, vcc, v7, v10, vcc
	ds_read_b128 v[16:19], v255 offset:5632
	v_add_co_u32_e32 v14, vcc, s5, v6
	global_store_dwordx4 v[6:7], v[0:3], off
	v_addc_co_u32_e32 v15, vcc, v7, v15, vcc
	v_mul_f64 v[0:1], v[4:5], s[0:1]
	v_mul_f64 v[2:3], v[8:9], s[0:1]
	;; [unrolled: 1-line block ×4, first 2 shown]
	v_fma_f64 v[4:5], v[20:21], v[40:41], v[4:5]
	v_fma_f64 v[8:9], v[20:21], v[42:43], -v[8:9]
	ds_read_b128 v[20:23], v255 offset:8448
	buffer_load_dword v33, off, s[48:51], 0 offset:24 ; 4-byte Folded Reload
	buffer_load_dword v34, off, s[48:51], 0 offset:28 ; 4-byte Folded Reload
	;; [unrolled: 1-line block ×4, first 2 shown]
	ds_read_b128 v[28:31], v255 offset:16896
	global_store_dwordx4 v[14:15], v[0:3], off
	v_add_co_u32_e32 v14, vcc, s3, v14
	v_mul_f64 v[0:1], v[4:5], s[0:1]
	ds_read_b128 v[4:7], v255 offset:19712
	v_mul_f64 v[2:3], v[8:9], s[0:1]
	v_addc_co_u32_e32 v15, vcc, v15, v32, vcc
	s_waitcnt vmcnt(1) lgkmcnt(3)
	v_mul_f64 v[10:11], v[35:36], v[18:19]
	v_mul_f64 v[12:13], v[35:36], v[16:17]
	v_fma_f64 v[8:9], v[33:34], v[16:17], v[10:11]
	v_fma_f64 v[10:11], v[33:34], v[18:19], -v[12:13]
	buffer_load_dword v33, off, s[48:51], 0 offset:40 ; 4-byte Folded Reload
	buffer_load_dword v34, off, s[48:51], 0 offset:44 ; 4-byte Folded Reload
	;; [unrolled: 1-line block ×4, first 2 shown]
	v_mov_b32_e32 v18, s4
	global_store_dwordx4 v[14:15], v[0:3], off
	s_waitcnt vmcnt(1) lgkmcnt(1)
	v_mul_f64 v[12:13], v[35:36], v[30:31]
	v_mul_f64 v[16:17], v[35:36], v[28:29]
	;; [unrolled: 1-line block ×4, first 2 shown]
	v_fma_f64 v[8:9], v[33:34], v[28:29], v[12:13]
	v_fma_f64 v[10:11], v[33:34], v[30:31], -v[16:17]
	buffer_load_dword v29, off, s[48:51], 0 offset:56 ; 4-byte Folded Reload
	buffer_load_dword v30, off, s[48:51], 0 offset:60 ; 4-byte Folded Reload
	;; [unrolled: 1-line block ×8, first 2 shown]
	v_add_co_u32_e32 v12, vcc, s5, v14
	v_addc_co_u32_e32 v13, vcc, v15, v18, vcc
	global_store_dwordx4 v[12:13], v[0:3], off
	v_mov_b32_e32 v28, s2
	v_mul_f64 v[0:1], v[8:9], s[0:1]
	v_mul_f64 v[2:3], v[10:11], s[0:1]
	v_add_co_u32_e32 v12, vcc, s3, v12
	v_addc_co_u32_e32 v13, vcc, v13, v28, vcc
	global_store_dwordx4 v[12:13], v[0:3], off
	s_waitcnt vmcnt(6)
	v_mul_f64 v[14:15], v[31:32], v[22:23]
	v_mul_f64 v[16:17], v[31:32], v[20:21]
	s_waitcnt vmcnt(2) lgkmcnt(0)
	v_mul_f64 v[18:19], v[26:27], v[6:7]
	v_mul_f64 v[26:27], v[26:27], v[4:5]
	v_fma_f64 v[8:9], v[29:30], v[20:21], v[14:15]
	v_fma_f64 v[10:11], v[29:30], v[22:23], -v[16:17]
	v_fma_f64 v[4:5], v[24:25], v[4:5], v[18:19]
	v_fma_f64 v[6:7], v[24:25], v[6:7], -v[26:27]
	v_mul_f64 v[0:1], v[8:9], s[0:1]
	v_mul_f64 v[2:3], v[10:11], s[0:1]
	v_mul_f64 v[4:5], v[4:5], s[0:1]
	v_mul_f64 v[6:7], v[6:7], s[0:1]
	v_mov_b32_e32 v9, s4
	v_add_co_u32_e32 v8, vcc, s5, v12
	v_addc_co_u32_e32 v9, vcc, v13, v9, vcc
	global_store_dwordx4 v[8:9], v[0:3], off
	s_nop 0
	v_mov_b32_e32 v1, s2
	v_add_co_u32_e32 v0, vcc, s3, v8
	v_addc_co_u32_e32 v1, vcc, v9, v1, vcc
	global_store_dwordx4 v[0:1], v[4:7], off
.LBB0_10:
	s_endpgm
	.section	.rodata,"a",@progbits
	.p2align	6, 0x0
	.amdhsa_kernel bluestein_single_fwd_len1408_dim1_dp_op_CI_CI
		.amdhsa_group_segment_fixed_size 22528
		.amdhsa_private_segment_fixed_size 472
		.amdhsa_kernarg_size 104
		.amdhsa_user_sgpr_count 6
		.amdhsa_user_sgpr_private_segment_buffer 1
		.amdhsa_user_sgpr_dispatch_ptr 0
		.amdhsa_user_sgpr_queue_ptr 0
		.amdhsa_user_sgpr_kernarg_segment_ptr 1
		.amdhsa_user_sgpr_dispatch_id 0
		.amdhsa_user_sgpr_flat_scratch_init 0
		.amdhsa_user_sgpr_private_segment_size 0
		.amdhsa_uses_dynamic_stack 0
		.amdhsa_system_sgpr_private_segment_wavefront_offset 1
		.amdhsa_system_sgpr_workgroup_id_x 1
		.amdhsa_system_sgpr_workgroup_id_y 0
		.amdhsa_system_sgpr_workgroup_id_z 0
		.amdhsa_system_sgpr_workgroup_info 0
		.amdhsa_system_vgpr_workitem_id 0
		.amdhsa_next_free_vgpr 256
		.amdhsa_next_free_sgpr 52
		.amdhsa_reserve_vcc 1
		.amdhsa_reserve_flat_scratch 0
		.amdhsa_float_round_mode_32 0
		.amdhsa_float_round_mode_16_64 0
		.amdhsa_float_denorm_mode_32 3
		.amdhsa_float_denorm_mode_16_64 3
		.amdhsa_dx10_clamp 1
		.amdhsa_ieee_mode 1
		.amdhsa_fp16_overflow 0
		.amdhsa_exception_fp_ieee_invalid_op 0
		.amdhsa_exception_fp_denorm_src 0
		.amdhsa_exception_fp_ieee_div_zero 0
		.amdhsa_exception_fp_ieee_overflow 0
		.amdhsa_exception_fp_ieee_underflow 0
		.amdhsa_exception_fp_ieee_inexact 0
		.amdhsa_exception_int_div_zero 0
	.end_amdhsa_kernel
	.text
.Lfunc_end0:
	.size	bluestein_single_fwd_len1408_dim1_dp_op_CI_CI, .Lfunc_end0-bluestein_single_fwd_len1408_dim1_dp_op_CI_CI
                                        ; -- End function
	.section	.AMDGPU.csdata,"",@progbits
; Kernel info:
; codeLenInByte = 17304
; NumSgprs: 56
; NumVgprs: 256
; ScratchSize: 472
; MemoryBound: 0
; FloatMode: 240
; IeeeMode: 1
; LDSByteSize: 22528 bytes/workgroup (compile time only)
; SGPRBlocks: 6
; VGPRBlocks: 63
; NumSGPRsForWavesPerEU: 56
; NumVGPRsForWavesPerEU: 256
; Occupancy: 1
; WaveLimiterHint : 1
; COMPUTE_PGM_RSRC2:SCRATCH_EN: 1
; COMPUTE_PGM_RSRC2:USER_SGPR: 6
; COMPUTE_PGM_RSRC2:TRAP_HANDLER: 0
; COMPUTE_PGM_RSRC2:TGID_X_EN: 1
; COMPUTE_PGM_RSRC2:TGID_Y_EN: 0
; COMPUTE_PGM_RSRC2:TGID_Z_EN: 0
; COMPUTE_PGM_RSRC2:TIDIG_COMP_CNT: 0
	.type	__hip_cuid_edfede436be9f6d6,@object ; @__hip_cuid_edfede436be9f6d6
	.section	.bss,"aw",@nobits
	.globl	__hip_cuid_edfede436be9f6d6
__hip_cuid_edfede436be9f6d6:
	.byte	0                               ; 0x0
	.size	__hip_cuid_edfede436be9f6d6, 1

	.ident	"AMD clang version 19.0.0git (https://github.com/RadeonOpenCompute/llvm-project roc-6.4.0 25133 c7fe45cf4b819c5991fe208aaa96edf142730f1d)"
	.section	".note.GNU-stack","",@progbits
	.addrsig
	.addrsig_sym __hip_cuid_edfede436be9f6d6
	.amdgpu_metadata
---
amdhsa.kernels:
  - .args:
      - .actual_access:  read_only
        .address_space:  global
        .offset:         0
        .size:           8
        .value_kind:     global_buffer
      - .actual_access:  read_only
        .address_space:  global
        .offset:         8
        .size:           8
        .value_kind:     global_buffer
      - .actual_access:  read_only
        .address_space:  global
        .offset:         16
        .size:           8
        .value_kind:     global_buffer
      - .actual_access:  read_only
        .address_space:  global
        .offset:         24
        .size:           8
        .value_kind:     global_buffer
      - .actual_access:  read_only
        .address_space:  global
        .offset:         32
        .size:           8
        .value_kind:     global_buffer
      - .offset:         40
        .size:           8
        .value_kind:     by_value
      - .address_space:  global
        .offset:         48
        .size:           8
        .value_kind:     global_buffer
      - .address_space:  global
        .offset:         56
        .size:           8
        .value_kind:     global_buffer
      - .address_space:  global
        .offset:         64
        .size:           8
        .value_kind:     global_buffer
      - .address_space:  global
        .offset:         72
        .size:           8
        .value_kind:     global_buffer
      - .offset:         80
        .size:           4
        .value_kind:     by_value
      - .address_space:  global
        .offset:         88
        .size:           8
        .value_kind:     global_buffer
      - .address_space:  global
        .offset:         96
        .size:           8
        .value_kind:     global_buffer
    .group_segment_fixed_size: 22528
    .kernarg_segment_align: 8
    .kernarg_segment_size: 104
    .language:       OpenCL C
    .language_version:
      - 2
      - 0
    .max_flat_workgroup_size: 176
    .name:           bluestein_single_fwd_len1408_dim1_dp_op_CI_CI
    .private_segment_fixed_size: 472
    .sgpr_count:     56
    .sgpr_spill_count: 0
    .symbol:         bluestein_single_fwd_len1408_dim1_dp_op_CI_CI.kd
    .uniform_work_group_size: 1
    .uses_dynamic_stack: false
    .vgpr_count:     256
    .vgpr_spill_count: 117
    .wavefront_size: 64
amdhsa.target:   amdgcn-amd-amdhsa--gfx906
amdhsa.version:
  - 1
  - 2
...

	.end_amdgpu_metadata
